;; amdgpu-corpus repo=zjin-lcf/HeCBench kind=compiled arch=gfx906 opt=O3
	.amdgcn_target "amdgcn-amd-amdhsa--gfx906"
	.amdhsa_code_object_version 6
	.text
	.protected	_Z19apply_step_functionPfS_i ; -- Begin function _Z19apply_step_functionPfS_i
	.globl	_Z19apply_step_functionPfS_i
	.p2align	8
	.type	_Z19apply_step_functionPfS_i,@function
_Z19apply_step_functionPfS_i:           ; @_Z19apply_step_functionPfS_i
; %bb.0:
	s_load_dword s0, s[4:5], 0x24
	s_load_dword s1, s[4:5], 0x18
	;; [unrolled: 1-line block ×3, first 2 shown]
	s_waitcnt lgkmcnt(0)
	s_and_b32 s0, s0, 0xffff
	s_mul_i32 s1, s1, s0
	s_abs_i32 s2, s1
	v_cvt_f32_u32_e32 v1, s2
	s_mul_i32 s6, s6, s0
	s_ashr_i32 s0, s1, 31
	s_sub_i32 s1, 0, s2
	v_rcp_iflag_f32_e32 v1, v1
	v_add_u32_e32 v0, s6, v0
	v_mul_lo_u32 v0, v0, s3
	v_mul_f32_e32 v1, 0x4f7ffffe, v1
	v_cvt_u32_f32_e32 v1, v1
	v_sub_u32_e32 v4, 0, v0
	v_ashrrev_i32_e32 v3, 31, v0
	v_add_u32_e32 v5, s3, v0
	v_mul_lo_u32 v2, s1, v1
	v_max_i32_e32 v0, v0, v4
	v_sub_u32_e32 v6, 0, v5
	v_ashrrev_i32_e32 v4, 31, v5
	v_mul_hi_u32 v2, v1, v2
	v_max_i32_e32 v5, v5, v6
	v_xor_b32_e32 v3, s0, v3
	v_xor_b32_e32 v4, s0, v4
	v_add_u32_e32 v1, v1, v2
	v_mul_hi_u32 v2, v0, v1
	v_mul_hi_u32 v1, v5, v1
	v_mul_lo_u32 v6, v2, s2
	v_add_u32_e32 v7, 1, v2
	v_mul_lo_u32 v8, v1, s2
	v_sub_u32_e32 v0, v0, v6
	v_cmp_le_u32_e32 vcc, s2, v0
	v_subrev_u32_e32 v6, s2, v0
	v_cndmask_b32_e32 v2, v2, v7, vcc
	v_cndmask_b32_e32 v0, v0, v6, vcc
	v_add_u32_e32 v6, 1, v2
	v_cmp_le_u32_e32 vcc, s2, v0
	v_cndmask_b32_e32 v0, v2, v6, vcc
	v_xor_b32_e32 v0, v0, v3
	v_sub_u32_e32 v2, v5, v8
	v_sub_u32_e32 v0, v0, v3
	v_add_u32_e32 v3, 1, v1
	v_cmp_le_u32_e32 vcc, s2, v2
	v_cndmask_b32_e32 v1, v1, v3, vcc
	v_subrev_u32_e32 v3, s2, v2
	v_cndmask_b32_e32 v2, v2, v3, vcc
	v_add_u32_e32 v3, 1, v1
	v_cmp_le_u32_e32 vcc, s2, v2
	v_cndmask_b32_e32 v1, v1, v3, vcc
	v_xor_b32_e32 v1, v1, v4
	v_sub_u32_e32 v5, v1, v4
	v_cmp_lt_i32_e32 vcc, v0, v5
	s_and_saveexec_b64 s[0:1], vcc
	s_cbranch_execz .LBB0_3
; %bb.1:
	s_load_dwordx4 s[0:3], s[4:5], 0x0
	v_ashrrev_i32_e32 v1, 31, v0
	v_lshlrev_b64 v[3:4], 2, v[0:1]
	s_mov_b32 s4, 0xc2b17218
	s_waitcnt lgkmcnt(0)
	v_mov_b32_e32 v2, s1
	v_add_co_u32_e32 v1, vcc, s0, v3
	v_addc_co_u32_e32 v2, vcc, v2, v4, vcc
	v_mov_b32_e32 v6, s3
	v_add_co_u32_e32 v3, vcc, s2, v3
	v_addc_co_u32_e32 v4, vcc, v6, v4, vcc
	s_mov_b64 s[0:1], 0
	s_mov_b32 s2, 0xbfb8aa3b
	s_mov_b32 s3, 0x42ce8ed0
	v_mov_b32_e32 v6, 0x7f800000
.LBB0_2:                                ; =>This Inner Loop Header: Depth=1
	global_load_dword v7, v[1:2], off
	v_add_u32_e32 v0, 1, v0
	s_waitcnt vmcnt(0)
	v_mul_f32_e32 v8, 0xbfb8aa3b, v7
	v_rndne_f32_e32 v9, v8
	v_fma_f32 v10, v7, s2, -v8
	v_sub_f32_e32 v8, v8, v9
	v_fmac_f32_e32 v10, 0xb2a5705f, v7
	v_add_f32_e32 v8, v8, v10
	v_cvt_i32_f32_e32 v9, v9
	v_exp_f32_e32 v8, v8
	v_cmp_nlt_f32_e32 vcc, s3, v7
	v_ldexp_f32 v8, v8, v9
	v_cndmask_b32_e32 v8, 0, v8, vcc
	v_cmp_ngt_f32_e32 vcc, s4, v7
	v_cndmask_b32_e32 v7, v6, v8, vcc
	v_add_f32_e32 v7, 1.0, v7
	v_div_scale_f32 v8, s[6:7], v7, v7, 1.0
	v_div_scale_f32 v9, vcc, 1.0, v7, 1.0
	v_rcp_f32_e32 v10, v8
	v_fma_f32 v11, -v8, v10, 1.0
	v_fmac_f32_e32 v10, v11, v10
	v_mul_f32_e32 v11, v9, v10
	v_fma_f32 v12, -v8, v11, v9
	v_fmac_f32_e32 v11, v12, v10
	v_fma_f32 v8, -v8, v11, v9
	v_div_fmas_f32 v8, v8, v10, v11
	v_add_co_u32_e32 v1, vcc, 4, v1
	v_addc_co_u32_e32 v2, vcc, 0, v2, vcc
	v_cmp_ge_i32_e32 vcc, v0, v5
	s_or_b64 s[0:1], vcc, s[0:1]
	v_div_fixup_f32 v7, v8, v7, 1.0
	global_store_dword v[3:4], v7, off
	v_add_co_u32_e32 v3, vcc, 4, v3
	v_addc_co_u32_e32 v4, vcc, 0, v4, vcc
	s_andn2_b64 exec, exec, s[0:1]
	s_cbranch_execnz .LBB0_2
.LBB0_3:
	s_endpgm
	.section	.rodata,"a",@progbits
	.p2align	6, 0x0
	.amdhsa_kernel _Z19apply_step_functionPfS_i
		.amdhsa_group_segment_fixed_size 0
		.amdhsa_private_segment_fixed_size 0
		.amdhsa_kernarg_size 280
		.amdhsa_user_sgpr_count 6
		.amdhsa_user_sgpr_private_segment_buffer 1
		.amdhsa_user_sgpr_dispatch_ptr 0
		.amdhsa_user_sgpr_queue_ptr 0
		.amdhsa_user_sgpr_kernarg_segment_ptr 1
		.amdhsa_user_sgpr_dispatch_id 0
		.amdhsa_user_sgpr_flat_scratch_init 0
		.amdhsa_user_sgpr_private_segment_size 0
		.amdhsa_uses_dynamic_stack 0
		.amdhsa_system_sgpr_private_segment_wavefront_offset 0
		.amdhsa_system_sgpr_workgroup_id_x 1
		.amdhsa_system_sgpr_workgroup_id_y 0
		.amdhsa_system_sgpr_workgroup_id_z 0
		.amdhsa_system_sgpr_workgroup_info 0
		.amdhsa_system_vgpr_workitem_id 0
		.amdhsa_next_free_vgpr 13
		.amdhsa_next_free_sgpr 8
		.amdhsa_reserve_vcc 1
		.amdhsa_reserve_flat_scratch 0
		.amdhsa_float_round_mode_32 0
		.amdhsa_float_round_mode_16_64 0
		.amdhsa_float_denorm_mode_32 3
		.amdhsa_float_denorm_mode_16_64 3
		.amdhsa_dx10_clamp 1
		.amdhsa_ieee_mode 1
		.amdhsa_fp16_overflow 0
		.amdhsa_exception_fp_ieee_invalid_op 0
		.amdhsa_exception_fp_denorm_src 0
		.amdhsa_exception_fp_ieee_div_zero 0
		.amdhsa_exception_fp_ieee_overflow 0
		.amdhsa_exception_fp_ieee_underflow 0
		.amdhsa_exception_fp_ieee_inexact 0
		.amdhsa_exception_int_div_zero 0
	.end_amdhsa_kernel
	.text
.Lfunc_end0:
	.size	_Z19apply_step_functionPfS_i, .Lfunc_end0-_Z19apply_step_functionPfS_i
                                        ; -- End function
	.set _Z19apply_step_functionPfS_i.num_vgpr, 13
	.set _Z19apply_step_functionPfS_i.num_agpr, 0
	.set _Z19apply_step_functionPfS_i.numbered_sgpr, 8
	.set _Z19apply_step_functionPfS_i.num_named_barrier, 0
	.set _Z19apply_step_functionPfS_i.private_seg_size, 0
	.set _Z19apply_step_functionPfS_i.uses_vcc, 1
	.set _Z19apply_step_functionPfS_i.uses_flat_scratch, 0
	.set _Z19apply_step_functionPfS_i.has_dyn_sized_stack, 0
	.set _Z19apply_step_functionPfS_i.has_recursion, 0
	.set _Z19apply_step_functionPfS_i.has_indirect_call, 0
	.section	.AMDGPU.csdata,"",@progbits
; Kernel info:
; codeLenInByte = 564
; TotalNumSgprs: 12
; NumVgprs: 13
; ScratchSize: 0
; MemoryBound: 0
; FloatMode: 240
; IeeeMode: 1
; LDSByteSize: 0 bytes/workgroup (compile time only)
; SGPRBlocks: 1
; VGPRBlocks: 3
; NumSGPRsForWavesPerEU: 12
; NumVGPRsForWavesPerEU: 13
; Occupancy: 10
; WaveLimiterHint : 0
; COMPUTE_PGM_RSRC2:SCRATCH_EN: 0
; COMPUTE_PGM_RSRC2:USER_SGPR: 6
; COMPUTE_PGM_RSRC2:TRAP_HANDLER: 0
; COMPUTE_PGM_RSRC2:TGID_X_EN: 1
; COMPUTE_PGM_RSRC2:TGID_Y_EN: 0
; COMPUTE_PGM_RSRC2:TGID_Z_EN: 0
; COMPUTE_PGM_RSRC2:TIDIG_COMP_CNT: 0
	.text
	.protected	_Z9makeErrorPfS_ji      ; -- Begin function _Z9makeErrorPfS_ji
	.globl	_Z9makeErrorPfS_ji
	.p2align	8
	.type	_Z9makeErrorPfS_ji,@function
_Z9makeErrorPfS_ji:                     ; @_Z9makeErrorPfS_ji
; %bb.0:
	s_load_dword s0, s[4:5], 0x24
	s_load_dword s1, s[4:5], 0x18
	s_waitcnt lgkmcnt(0)
	s_and_b32 s2, s0, 0xffff
	s_mul_i32 s3, s1, s2
	s_abs_i32 s7, s3
	v_cvt_f32_u32_e32 v1, s7
	s_load_dwordx2 s[0:1], s[4:5], 0x10
	s_mul_i32 s6, s6, s2
	s_ashr_i32 s2, s3, 31
	v_rcp_iflag_f32_e32 v1, v1
	s_sub_i32 s3, 0, s7
	v_add_u32_e32 v0, s6, v0
	s_waitcnt lgkmcnt(0)
	v_mul_lo_u32 v0, v0, s1
	v_mul_f32_e32 v1, 0x4f7ffffe, v1
	v_cvt_u32_f32_e32 v1, v1
	v_sub_u32_e32 v4, 0, v0
	v_ashrrev_i32_e32 v3, 31, v0
	v_mul_lo_u32 v2, s3, v1
	v_add_u32_e32 v5, s1, v0
	v_max_i32_e32 v0, v0, v4
	v_sub_u32_e32 v6, 0, v5
	v_mul_hi_u32 v2, v1, v2
	v_ashrrev_i32_e32 v4, 31, v5
	v_max_i32_e32 v5, v5, v6
	v_xor_b32_e32 v3, s2, v3
	v_add_u32_e32 v1, v1, v2
	v_mul_hi_u32 v2, v0, v1
	v_mul_hi_u32 v1, v5, v1
	v_xor_b32_e32 v4, s2, v4
	v_mul_lo_u32 v6, v2, s7
	v_add_u32_e32 v7, 1, v2
	v_mul_lo_u32 v8, v1, s7
	v_sub_u32_e32 v0, v0, v6
	v_cmp_le_u32_e32 vcc, s7, v0
	v_subrev_u32_e32 v6, s7, v0
	v_cndmask_b32_e32 v2, v2, v7, vcc
	v_cndmask_b32_e32 v0, v0, v6, vcc
	v_add_u32_e32 v6, 1, v2
	v_cmp_le_u32_e32 vcc, s7, v0
	v_cndmask_b32_e32 v0, v2, v6, vcc
	v_xor_b32_e32 v0, v0, v3
	v_sub_u32_e32 v2, v5, v8
	v_sub_u32_e32 v0, v0, v3
	v_add_u32_e32 v3, 1, v1
	v_cmp_le_u32_e32 vcc, s7, v2
	v_cndmask_b32_e32 v1, v1, v3, vcc
	v_subrev_u32_e32 v3, s7, v2
	v_cndmask_b32_e32 v2, v2, v3, vcc
	v_add_u32_e32 v3, 1, v1
	v_cmp_le_u32_e32 vcc, s7, v2
	v_cndmask_b32_e32 v1, v1, v3, vcc
	v_xor_b32_e32 v1, v1, v4
	v_sub_u32_e32 v5, v1, v4
	v_cmp_lt_i32_e32 vcc, v0, v5
	s_and_saveexec_b64 s[2:3], vcc
	s_cbranch_execz .LBB1_3
; %bb.1:
	s_load_dwordx4 s[4:7], s[4:5], 0x0
	v_ashrrev_i32_e32 v1, 31, v0
	v_lshlrev_b64 v[3:4], 2, v[0:1]
	s_mov_b64 s[2:3], 0
	s_waitcnt lgkmcnt(0)
	v_mov_b32_e32 v2, s7
	v_add_co_u32_e32 v1, vcc, s6, v3
	v_addc_co_u32_e32 v2, vcc, v2, v4, vcc
	v_mov_b32_e32 v6, s5
	v_add_co_u32_e32 v3, vcc, s4, v3
	v_addc_co_u32_e32 v4, vcc, v6, v4, vcc
.LBB1_2:                                ; =>This Inner Loop Header: Depth=1
	global_load_dword v6, v[1:2], off
	v_cmp_eq_u32_e32 vcc, s0, v0
	v_cndmask_b32_e64 v7, 0, 1.0, vcc
	v_add_co_u32_e32 v1, vcc, 4, v1
	v_add_u32_e32 v0, 1, v0
	v_addc_co_u32_e32 v2, vcc, 0, v2, vcc
	v_cmp_ge_i32_e32 vcc, v0, v5
	s_or_b64 s[2:3], vcc, s[2:3]
	s_waitcnt vmcnt(0)
	v_sub_f32_e32 v6, v7, v6
	global_store_dword v[3:4], v6, off
	v_add_co_u32_e32 v3, vcc, 4, v3
	v_addc_co_u32_e32 v4, vcc, 0, v4, vcc
	s_andn2_b64 exec, exec, s[2:3]
	s_cbranch_execnz .LBB1_2
.LBB1_3:
	s_endpgm
	.section	.rodata,"a",@progbits
	.p2align	6, 0x0
	.amdhsa_kernel _Z9makeErrorPfS_ji
		.amdhsa_group_segment_fixed_size 0
		.amdhsa_private_segment_fixed_size 0
		.amdhsa_kernarg_size 280
		.amdhsa_user_sgpr_count 6
		.amdhsa_user_sgpr_private_segment_buffer 1
		.amdhsa_user_sgpr_dispatch_ptr 0
		.amdhsa_user_sgpr_queue_ptr 0
		.amdhsa_user_sgpr_kernarg_segment_ptr 1
		.amdhsa_user_sgpr_dispatch_id 0
		.amdhsa_user_sgpr_flat_scratch_init 0
		.amdhsa_user_sgpr_private_segment_size 0
		.amdhsa_uses_dynamic_stack 0
		.amdhsa_system_sgpr_private_segment_wavefront_offset 0
		.amdhsa_system_sgpr_workgroup_id_x 1
		.amdhsa_system_sgpr_workgroup_id_y 0
		.amdhsa_system_sgpr_workgroup_id_z 0
		.amdhsa_system_sgpr_workgroup_info 0
		.amdhsa_system_vgpr_workitem_id 0
		.amdhsa_next_free_vgpr 9
		.amdhsa_next_free_sgpr 8
		.amdhsa_reserve_vcc 1
		.amdhsa_reserve_flat_scratch 0
		.amdhsa_float_round_mode_32 0
		.amdhsa_float_round_mode_16_64 0
		.amdhsa_float_denorm_mode_32 3
		.amdhsa_float_denorm_mode_16_64 3
		.amdhsa_dx10_clamp 1
		.amdhsa_ieee_mode 1
		.amdhsa_fp16_overflow 0
		.amdhsa_exception_fp_ieee_invalid_op 0
		.amdhsa_exception_fp_denorm_src 0
		.amdhsa_exception_fp_ieee_div_zero 0
		.amdhsa_exception_fp_ieee_overflow 0
		.amdhsa_exception_fp_ieee_underflow 0
		.amdhsa_exception_fp_ieee_inexact 0
		.amdhsa_exception_int_div_zero 0
	.end_amdhsa_kernel
	.text
.Lfunc_end1:
	.size	_Z9makeErrorPfS_ji, .Lfunc_end1-_Z9makeErrorPfS_ji
                                        ; -- End function
	.set _Z9makeErrorPfS_ji.num_vgpr, 9
	.set _Z9makeErrorPfS_ji.num_agpr, 0
	.set _Z9makeErrorPfS_ji.numbered_sgpr, 8
	.set _Z9makeErrorPfS_ji.num_named_barrier, 0
	.set _Z9makeErrorPfS_ji.private_seg_size, 0
	.set _Z9makeErrorPfS_ji.uses_vcc, 1
	.set _Z9makeErrorPfS_ji.uses_flat_scratch, 0
	.set _Z9makeErrorPfS_ji.has_dyn_sized_stack, 0
	.set _Z9makeErrorPfS_ji.has_recursion, 0
	.set _Z9makeErrorPfS_ji.has_indirect_call, 0
	.section	.AMDGPU.csdata,"",@progbits
; Kernel info:
; codeLenInByte = 408
; TotalNumSgprs: 12
; NumVgprs: 9
; ScratchSize: 0
; MemoryBound: 0
; FloatMode: 240
; IeeeMode: 1
; LDSByteSize: 0 bytes/workgroup (compile time only)
; SGPRBlocks: 1
; VGPRBlocks: 2
; NumSGPRsForWavesPerEU: 12
; NumVGPRsForWavesPerEU: 9
; Occupancy: 10
; WaveLimiterHint : 0
; COMPUTE_PGM_RSRC2:SCRATCH_EN: 0
; COMPUTE_PGM_RSRC2:USER_SGPR: 6
; COMPUTE_PGM_RSRC2:TRAP_HANDLER: 0
; COMPUTE_PGM_RSRC2:TGID_X_EN: 1
; COMPUTE_PGM_RSRC2:TGID_Y_EN: 0
; COMPUTE_PGM_RSRC2:TGID_Z_EN: 0
; COMPUTE_PGM_RSRC2:TIDIG_COMP_CNT: 0
	.text
	.protected	_Z10apply_gradPfS_i     ; -- Begin function _Z10apply_gradPfS_i
	.globl	_Z10apply_gradPfS_i
	.p2align	8
	.type	_Z10apply_gradPfS_i,@function
_Z10apply_gradPfS_i:                    ; @_Z10apply_gradPfS_i
; %bb.0:
	s_load_dword s0, s[4:5], 0x24
	s_load_dword s1, s[4:5], 0x18
	;; [unrolled: 1-line block ×3, first 2 shown]
	s_waitcnt lgkmcnt(0)
	s_and_b32 s0, s0, 0xffff
	s_mul_i32 s1, s1, s0
	s_abs_i32 s2, s1
	v_cvt_f32_u32_e32 v1, s2
	s_mul_i32 s6, s6, s0
	s_ashr_i32 s0, s1, 31
	s_sub_i32 s1, 0, s2
	v_rcp_iflag_f32_e32 v1, v1
	v_add_u32_e32 v0, s6, v0
	v_mul_lo_u32 v0, v0, s3
	v_mul_f32_e32 v1, 0x4f7ffffe, v1
	v_cvt_u32_f32_e32 v1, v1
	v_sub_u32_e32 v4, 0, v0
	v_ashrrev_i32_e32 v3, 31, v0
	v_add_u32_e32 v5, s3, v0
	v_mul_lo_u32 v2, s1, v1
	v_max_i32_e32 v0, v0, v4
	v_sub_u32_e32 v6, 0, v5
	v_ashrrev_i32_e32 v4, 31, v5
	v_mul_hi_u32 v2, v1, v2
	v_max_i32_e32 v5, v5, v6
	v_xor_b32_e32 v3, s0, v3
	v_xor_b32_e32 v4, s0, v4
	v_add_u32_e32 v1, v1, v2
	v_mul_hi_u32 v2, v0, v1
	v_mul_hi_u32 v1, v5, v1
	v_mul_lo_u32 v6, v2, s2
	v_add_u32_e32 v7, 1, v2
	v_mul_lo_u32 v8, v1, s2
	v_sub_u32_e32 v0, v0, v6
	v_cmp_le_u32_e32 vcc, s2, v0
	v_subrev_u32_e32 v6, s2, v0
	v_cndmask_b32_e32 v2, v2, v7, vcc
	v_cndmask_b32_e32 v0, v0, v6, vcc
	v_add_u32_e32 v6, 1, v2
	v_cmp_le_u32_e32 vcc, s2, v0
	v_cndmask_b32_e32 v0, v2, v6, vcc
	v_xor_b32_e32 v0, v0, v3
	v_sub_u32_e32 v2, v5, v8
	v_sub_u32_e32 v0, v0, v3
	v_add_u32_e32 v3, 1, v1
	v_cmp_le_u32_e32 vcc, s2, v2
	v_cndmask_b32_e32 v1, v1, v3, vcc
	v_subrev_u32_e32 v3, s2, v2
	v_cndmask_b32_e32 v2, v2, v3, vcc
	v_add_u32_e32 v3, 1, v1
	v_cmp_le_u32_e32 vcc, s2, v2
	v_cndmask_b32_e32 v1, v1, v3, vcc
	v_xor_b32_e32 v1, v1, v4
	v_sub_u32_e32 v5, v1, v4
	v_cmp_lt_i32_e32 vcc, v0, v5
	s_and_saveexec_b64 s[0:1], vcc
	s_cbranch_execz .LBB2_3
; %bb.1:
	s_load_dwordx4 s[0:3], s[4:5], 0x0
	v_ashrrev_i32_e32 v1, 31, v0
	v_lshlrev_b64 v[3:4], 2, v[0:1]
	s_waitcnt lgkmcnt(0)
	v_mov_b32_e32 v2, s3
	v_add_co_u32_e32 v1, vcc, s2, v3
	v_addc_co_u32_e32 v2, vcc, v2, v4, vcc
	v_mov_b32_e32 v6, s1
	v_add_co_u32_e32 v3, vcc, s0, v3
	v_addc_co_u32_e32 v4, vcc, v6, v4, vcc
	s_mov_b64 s[0:1], 0
.LBB2_2:                                ; =>This Inner Loop Header: Depth=1
	global_load_dword v6, v[1:2], off
	global_load_dword v7, v[3:4], off
	v_add_co_u32_e32 v1, vcc, 4, v1
	v_add_u32_e32 v0, 1, v0
	v_addc_co_u32_e32 v2, vcc, 0, v2, vcc
	v_cmp_ge_i32_e32 vcc, v0, v5
	s_or_b64 s[0:1], vcc, s[0:1]
	s_waitcnt vmcnt(0)
	v_fmac_f32_e32 v7, 0x3dcccccd, v6
	global_store_dword v[3:4], v7, off
	v_add_co_u32_e32 v3, vcc, 4, v3
	v_addc_co_u32_e32 v4, vcc, 0, v4, vcc
	s_andn2_b64 exec, exec, s[0:1]
	s_cbranch_execnz .LBB2_2
.LBB2_3:
	s_endpgm
	.section	.rodata,"a",@progbits
	.p2align	6, 0x0
	.amdhsa_kernel _Z10apply_gradPfS_i
		.amdhsa_group_segment_fixed_size 0
		.amdhsa_private_segment_fixed_size 0
		.amdhsa_kernarg_size 280
		.amdhsa_user_sgpr_count 6
		.amdhsa_user_sgpr_private_segment_buffer 1
		.amdhsa_user_sgpr_dispatch_ptr 0
		.amdhsa_user_sgpr_queue_ptr 0
		.amdhsa_user_sgpr_kernarg_segment_ptr 1
		.amdhsa_user_sgpr_dispatch_id 0
		.amdhsa_user_sgpr_flat_scratch_init 0
		.amdhsa_user_sgpr_private_segment_size 0
		.amdhsa_uses_dynamic_stack 0
		.amdhsa_system_sgpr_private_segment_wavefront_offset 0
		.amdhsa_system_sgpr_workgroup_id_x 1
		.amdhsa_system_sgpr_workgroup_id_y 0
		.amdhsa_system_sgpr_workgroup_id_z 0
		.amdhsa_system_sgpr_workgroup_info 0
		.amdhsa_system_vgpr_workitem_id 0
		.amdhsa_next_free_vgpr 9
		.amdhsa_next_free_sgpr 7
		.amdhsa_reserve_vcc 1
		.amdhsa_reserve_flat_scratch 0
		.amdhsa_float_round_mode_32 0
		.amdhsa_float_round_mode_16_64 0
		.amdhsa_float_denorm_mode_32 3
		.amdhsa_float_denorm_mode_16_64 3
		.amdhsa_dx10_clamp 1
		.amdhsa_ieee_mode 1
		.amdhsa_fp16_overflow 0
		.amdhsa_exception_fp_ieee_invalid_op 0
		.amdhsa_exception_fp_denorm_src 0
		.amdhsa_exception_fp_ieee_div_zero 0
		.amdhsa_exception_fp_ieee_overflow 0
		.amdhsa_exception_fp_ieee_underflow 0
		.amdhsa_exception_fp_ieee_inexact 0
		.amdhsa_exception_int_div_zero 0
	.end_amdhsa_kernel
	.text
.Lfunc_end2:
	.size	_Z10apply_gradPfS_i, .Lfunc_end2-_Z10apply_gradPfS_i
                                        ; -- End function
	.set _Z10apply_gradPfS_i.num_vgpr, 9
	.set _Z10apply_gradPfS_i.num_agpr, 0
	.set _Z10apply_gradPfS_i.numbered_sgpr, 7
	.set _Z10apply_gradPfS_i.num_named_barrier, 0
	.set _Z10apply_gradPfS_i.private_seg_size, 0
	.set _Z10apply_gradPfS_i.uses_vcc, 1
	.set _Z10apply_gradPfS_i.uses_flat_scratch, 0
	.set _Z10apply_gradPfS_i.has_dyn_sized_stack, 0
	.set _Z10apply_gradPfS_i.has_recursion, 0
	.set _Z10apply_gradPfS_i.has_indirect_call, 0
	.section	.AMDGPU.csdata,"",@progbits
; Kernel info:
; codeLenInByte = 404
; TotalNumSgprs: 11
; NumVgprs: 9
; ScratchSize: 0
; MemoryBound: 0
; FloatMode: 240
; IeeeMode: 1
; LDSByteSize: 0 bytes/workgroup (compile time only)
; SGPRBlocks: 1
; VGPRBlocks: 2
; NumSGPRsForWavesPerEU: 11
; NumVGPRsForWavesPerEU: 9
; Occupancy: 10
; WaveLimiterHint : 0
; COMPUTE_PGM_RSRC2:SCRATCH_EN: 0
; COMPUTE_PGM_RSRC2:USER_SGPR: 6
; COMPUTE_PGM_RSRC2:TRAP_HANDLER: 0
; COMPUTE_PGM_RSRC2:TGID_X_EN: 1
; COMPUTE_PGM_RSRC2:TGID_Y_EN: 0
; COMPUTE_PGM_RSRC2:TGID_Z_EN: 0
; COMPUTE_PGM_RSRC2:TIDIG_COMP_CNT: 0
	.text
	.protected	_Z12fp_preact_c1PA28_fPA24_A24_fPA5_A5_f ; -- Begin function _Z12fp_preact_c1PA28_fPA24_A24_fPA5_A5_f
	.globl	_Z12fp_preact_c1PA28_fPA24_A24_fPA5_A5_f
	.p2align	8
	.type	_Z12fp_preact_c1PA28_fPA24_A24_fPA5_A5_f,@function
_Z12fp_preact_c1PA28_fPA24_A24_fPA5_A5_f: ; @_Z12fp_preact_c1PA28_fPA24_A24_fPA5_A5_f
; %bb.0:
	s_load_dword s0, s[4:5], 0x24
	s_load_dword s1, s[4:5], 0x18
	s_mov_b32 s3, 0x15180
	s_waitcnt lgkmcnt(0)
	s_and_b32 s0, s0, 0xffff
	s_mul_i32 s1, s1, s0
	s_abs_i32 s2, s1
	v_cvt_f32_u32_e32 v1, s2
	s_mul_i32 s6, s6, s0
	s_ashr_i32 s0, s1, 31
	s_sub_i32 s1, 0, s2
	v_rcp_iflag_f32_e32 v1, v1
	v_add_u32_e32 v0, s6, v0
	v_mul_lo_u32 v0, v0, s3
	v_mul_f32_e32 v1, 0x4f7ffffe, v1
	v_cvt_u32_f32_e32 v1, v1
	v_sub_u32_e32 v4, 0, v0
	v_ashrrev_i32_e32 v3, 31, v0
	v_add_u32_e32 v5, 0x15180, v0
	v_mul_lo_u32 v2, s1, v1
	v_sub_u32_e32 v6, 0xfffeae80, v0
	v_max_i32_e32 v0, v0, v4
	v_ashrrev_i32_e32 v4, 31, v5
	v_mul_hi_u32 v2, v1, v2
	v_max_i32_e32 v5, v5, v6
	v_xor_b32_e32 v3, s0, v3
	v_xor_b32_e32 v4, s0, v4
	v_add_u32_e32 v1, v1, v2
	v_mul_hi_u32 v2, v0, v1
	v_mul_hi_u32 v1, v5, v1
	v_mul_lo_u32 v6, v2, s2
	v_add_u32_e32 v7, 1, v2
	v_mul_lo_u32 v8, v1, s2
	v_sub_u32_e32 v0, v0, v6
	v_cmp_le_u32_e32 vcc, s2, v0
	v_subrev_u32_e32 v6, s2, v0
	v_cndmask_b32_e32 v2, v2, v7, vcc
	v_cndmask_b32_e32 v0, v0, v6, vcc
	v_add_u32_e32 v6, 1, v2
	v_cmp_le_u32_e32 vcc, s2, v0
	v_cndmask_b32_e32 v0, v2, v6, vcc
	v_xor_b32_e32 v0, v0, v3
	v_sub_u32_e32 v10, v0, v3
	v_sub_u32_e32 v0, v5, v8
	v_add_u32_e32 v2, 1, v1
	v_cmp_le_u32_e32 vcc, s2, v0
	v_cndmask_b32_e32 v1, v1, v2, vcc
	v_subrev_u32_e32 v2, s2, v0
	v_cndmask_b32_e32 v0, v0, v2, vcc
	v_add_u32_e32 v2, 1, v1
	v_cmp_le_u32_e32 vcc, s2, v0
	v_cndmask_b32_e32 v0, v1, v2, vcc
	v_xor_b32_e32 v0, v0, v4
	v_sub_u32_e32 v11, v0, v4
	v_cmp_lt_i32_e32 vcc, v10, v11
	s_and_saveexec_b64 s[0:1], vcc
	s_cbranch_execz .LBB3_5
; %bb.1:
	s_load_dwordx4 s[16:19], s[4:5], 0x0
	s_load_dwordx2 s[2:3], s[4:5], 0x10
	s_mov_b64 s[0:1], 0
	s_mov_b32 s4, 0x66666667
	s_mov_b32 s5, 0x51eb851f
	s_waitcnt lgkmcnt(0)
	v_mov_b32_e32 v0, s18
	v_mov_b32_e32 v2, s2
	;; [unrolled: 1-line block ×3, first 2 shown]
	s_mov_b32 s6, 0x2aaaaaab
	s_mov_b32 s7, 0x1b4e81b5
	;; [unrolled: 1-line block ×3, first 2 shown]
	s_movk_i32 s9, 0x900
	v_mov_b32_e32 v1, s19
	s_movk_i32 s10, 0x60
	s_movk_i32 s11, 0x64
	v_mov_b32_e32 v3, s3
	s_movk_i32 s12, 0x70
	v_mov_b32_e32 v5, s17
.LBB3_2:                                ; =>This Loop Header: Depth=1
                                        ;     Child Loop BB3_3 Depth 2
	v_mul_hi_i32 v6, v10, s4
	v_mul_hi_i32 v7, v10, s5
	;; [unrolled: 1-line block ×3, first 2 shown]
	v_lshrrev_b32_e32 v8, 31, v6
	v_ashrrev_i32_e32 v6, 1, v6
	v_add_u32_e32 v6, v6, v8
	v_lshl_add_u32 v8, v6, 2, v6
	v_sub_u32_e32 v17, v10, v8
	v_lshrrev_b32_e32 v8, 31, v7
	v_ashrrev_i32_e32 v7, 3, v7
	v_mul_hi_i32 v9, v6, s4
	v_add_u32_e32 v7, v7, v8
	v_mul_hi_i32 v8, v7, s6
	v_lshrrev_b32_e32 v12, 31, v9
	v_ashrrev_i32_e32 v9, 1, v9
	v_add_u32_e32 v9, v9, v12
	v_lshrrev_b32_e32 v12, 31, v8
	v_add_u32_e32 v8, v8, v12
	v_mul_lo_u32 v8, v8, 6
	v_mul_hi_i32 v12, v10, s7
	v_lshl_add_u32 v9, v9, 2, v9
	v_sub_u32_e32 v6, v6, v9
	v_sub_u32_e32 v14, v7, v8
	v_lshrrev_b32_e32 v7, 31, v12
	v_ashrrev_i32_e32 v8, 4, v12
	v_add_u32_e32 v15, v8, v7
	v_mad_i64_i32 v[7:8], s[2:3], v14, s11, v[2:3]
	v_mul_hi_i32 v16, v15, s6
	v_mad_i64_i32 v[8:9], s[2:3], v17, 20, v[7:8]
	v_ashrrev_i32_e32 v7, 31, v6
	v_lshlrev_b64 v[12:13], 2, v[6:7]
	v_add_co_u32_e32 v7, vcc, v8, v12
	v_add_u32_e32 v12, v18, v10
	v_addc_co_u32_e32 v8, vcc, v9, v13, vcc
	v_lshrrev_b32_e32 v13, 31, v12
	v_ashrrev_i32_e32 v12, 11, v12
	v_add_u32_e32 v18, v12, v13
	v_mul_hi_i32 v12, v18, s6
	v_lshrrev_b32_e32 v9, 31, v16
	v_lshrrev_b32_e32 v13, 2, v16
	v_add_u32_e32 v9, v13, v9
	v_lshrrev_b32_e32 v13, 31, v12
	v_lshrrev_b32_e32 v12, 2, v12
	v_mul_lo_u32 v9, v9, 24
	v_add_u32_e32 v12, v12, v13
	v_mul_lo_u32 v16, v12, 24
	v_mad_i64_i32 v[12:13], s[2:3], v14, s9, v[0:1]
	v_sub_u32_e32 v9, v15, v9
	v_sub_u32_e32 v14, v18, v16
	global_load_dword v19, v[7:8], off
	v_add_u32_e32 v7, v9, v17
	v_mad_i64_i32 v[7:8], s[2:3], v7, s12, v[4:5]
	v_add_u32_e32 v17, v14, v6
	v_ashrrev_i32_e32 v18, 31, v17
	v_mad_i64_i32 v[12:13], s[2:3], v9, s10, v[12:13]
	v_lshlrev_b64 v[17:18], 2, v[17:18]
	v_ashrrev_i32_e32 v15, 31, v14
	v_lshlrev_b64 v[15:16], 2, v[14:15]
	v_add_co_u32_e32 v6, vcc, v7, v17
	v_addc_co_u32_e32 v7, vcc, v8, v18, vcc
	global_load_dword v8, v[6:7], off
	v_add_co_u32_e32 v6, vcc, v12, v15
	v_addc_co_u32_e32 v7, vcc, v13, v16, vcc
	global_load_dword v9, v[6:7], off
	s_mov_b64 s[2:3], 0
	s_waitcnt vmcnt(1)
	v_mul_f32_e32 v12, v19, v8
.LBB3_3:                                ;   Parent Loop BB3_2 Depth=1
                                        ; =>  This Inner Loop Header: Depth=2
	s_waitcnt vmcnt(0)
	v_add_f32_e32 v8, v9, v12
	global_atomic_cmpswap v8, v[6:7], v[8:9], off glc
	s_waitcnt vmcnt(0)
	v_cmp_eq_u32_e32 vcc, v8, v9
	s_or_b64 s[2:3], vcc, s[2:3]
	v_mov_b32_e32 v9, v8
	s_andn2_b64 exec, exec, s[2:3]
	s_cbranch_execnz .LBB3_3
; %bb.4:                                ;   in Loop: Header=BB3_2 Depth=1
	s_or_b64 exec, exec, s[2:3]
	v_add_u32_e32 v10, 1, v10
	v_cmp_ge_i32_e32 vcc, v10, v11
	s_or_b64 s[0:1], vcc, s[0:1]
	s_andn2_b64 exec, exec, s[0:1]
	s_cbranch_execnz .LBB3_2
.LBB3_5:
	s_endpgm
	.section	.rodata,"a",@progbits
	.p2align	6, 0x0
	.amdhsa_kernel _Z12fp_preact_c1PA28_fPA24_A24_fPA5_A5_f
		.amdhsa_group_segment_fixed_size 0
		.amdhsa_private_segment_fixed_size 0
		.amdhsa_kernarg_size 280
		.amdhsa_user_sgpr_count 6
		.amdhsa_user_sgpr_private_segment_buffer 1
		.amdhsa_user_sgpr_dispatch_ptr 0
		.amdhsa_user_sgpr_queue_ptr 0
		.amdhsa_user_sgpr_kernarg_segment_ptr 1
		.amdhsa_user_sgpr_dispatch_id 0
		.amdhsa_user_sgpr_flat_scratch_init 0
		.amdhsa_user_sgpr_private_segment_size 0
		.amdhsa_uses_dynamic_stack 0
		.amdhsa_system_sgpr_private_segment_wavefront_offset 0
		.amdhsa_system_sgpr_workgroup_id_x 1
		.amdhsa_system_sgpr_workgroup_id_y 0
		.amdhsa_system_sgpr_workgroup_id_z 0
		.amdhsa_system_sgpr_workgroup_info 0
		.amdhsa_system_vgpr_workitem_id 0
		.amdhsa_next_free_vgpr 20
		.amdhsa_next_free_sgpr 20
		.amdhsa_reserve_vcc 1
		.amdhsa_reserve_flat_scratch 0
		.amdhsa_float_round_mode_32 0
		.amdhsa_float_round_mode_16_64 0
		.amdhsa_float_denorm_mode_32 3
		.amdhsa_float_denorm_mode_16_64 3
		.amdhsa_dx10_clamp 1
		.amdhsa_ieee_mode 1
		.amdhsa_fp16_overflow 0
		.amdhsa_exception_fp_ieee_invalid_op 0
		.amdhsa_exception_fp_denorm_src 0
		.amdhsa_exception_fp_ieee_div_zero 0
		.amdhsa_exception_fp_ieee_overflow 0
		.amdhsa_exception_fp_ieee_underflow 0
		.amdhsa_exception_fp_ieee_inexact 0
		.amdhsa_exception_int_div_zero 0
	.end_amdhsa_kernel
	.text
.Lfunc_end3:
	.size	_Z12fp_preact_c1PA28_fPA24_A24_fPA5_A5_f, .Lfunc_end3-_Z12fp_preact_c1PA28_fPA24_A24_fPA5_A5_f
                                        ; -- End function
	.set _Z12fp_preact_c1PA28_fPA24_A24_fPA5_A5_f.num_vgpr, 20
	.set _Z12fp_preact_c1PA28_fPA24_A24_fPA5_A5_f.num_agpr, 0
	.set _Z12fp_preact_c1PA28_fPA24_A24_fPA5_A5_f.numbered_sgpr, 20
	.set _Z12fp_preact_c1PA28_fPA24_A24_fPA5_A5_f.num_named_barrier, 0
	.set _Z12fp_preact_c1PA28_fPA24_A24_fPA5_A5_f.private_seg_size, 0
	.set _Z12fp_preact_c1PA28_fPA24_A24_fPA5_A5_f.uses_vcc, 1
	.set _Z12fp_preact_c1PA28_fPA24_A24_fPA5_A5_f.uses_flat_scratch, 0
	.set _Z12fp_preact_c1PA28_fPA24_A24_fPA5_A5_f.has_dyn_sized_stack, 0
	.set _Z12fp_preact_c1PA28_fPA24_A24_fPA5_A5_f.has_recursion, 0
	.set _Z12fp_preact_c1PA28_fPA24_A24_fPA5_A5_f.has_indirect_call, 0
	.section	.AMDGPU.csdata,"",@progbits
; Kernel info:
; codeLenInByte = 820
; TotalNumSgprs: 24
; NumVgprs: 20
; ScratchSize: 0
; MemoryBound: 0
; FloatMode: 240
; IeeeMode: 1
; LDSByteSize: 0 bytes/workgroup (compile time only)
; SGPRBlocks: 2
; VGPRBlocks: 4
; NumSGPRsForWavesPerEU: 24
; NumVGPRsForWavesPerEU: 20
; Occupancy: 10
; WaveLimiterHint : 0
; COMPUTE_PGM_RSRC2:SCRATCH_EN: 0
; COMPUTE_PGM_RSRC2:USER_SGPR: 6
; COMPUTE_PGM_RSRC2:TRAP_HANDLER: 0
; COMPUTE_PGM_RSRC2:TGID_X_EN: 1
; COMPUTE_PGM_RSRC2:TGID_Y_EN: 0
; COMPUTE_PGM_RSRC2:TGID_Z_EN: 0
; COMPUTE_PGM_RSRC2:TIDIG_COMP_CNT: 0
	.text
	.protected	_Z10fp_bias_c1PA24_A24_fPf ; -- Begin function _Z10fp_bias_c1PA24_A24_fPf
	.globl	_Z10fp_bias_c1PA24_A24_fPf
	.p2align	8
	.type	_Z10fp_bias_c1PA24_A24_fPf,@function
_Z10fp_bias_c1PA24_A24_fPf:             ; @_Z10fp_bias_c1PA24_A24_fPf
; %bb.0:
	s_load_dword s0, s[4:5], 0x1c
	s_load_dword s1, s[4:5], 0x10
	s_movk_i32 s3, 0xd80
	s_waitcnt lgkmcnt(0)
	s_and_b32 s0, s0, 0xffff
	s_mul_i32 s1, s1, s0
	s_abs_i32 s2, s1
	v_cvt_f32_u32_e32 v1, s2
	s_mul_i32 s6, s6, s0
	s_ashr_i32 s0, s1, 31
	s_sub_i32 s1, 0, s2
	v_rcp_iflag_f32_e32 v1, v1
	v_add_u32_e32 v0, s6, v0
	v_mul_lo_u32 v0, v0, s3
	v_mul_f32_e32 v1, 0x4f7ffffe, v1
	v_cvt_u32_f32_e32 v1, v1
	v_sub_u32_e32 v4, 0, v0
	v_ashrrev_i32_e32 v3, 31, v0
	v_add_u32_e32 v5, 0xd80, v0
	v_mul_lo_u32 v2, s1, v1
	v_sub_u32_e32 v6, 0xfffff280, v0
	v_max_i32_e32 v0, v0, v4
	v_ashrrev_i32_e32 v4, 31, v5
	v_mul_hi_u32 v2, v1, v2
	v_max_i32_e32 v5, v5, v6
	v_xor_b32_e32 v3, s0, v3
	v_xor_b32_e32 v4, s0, v4
	v_add_u32_e32 v1, v1, v2
	v_mul_hi_u32 v2, v0, v1
	v_mul_hi_u32 v1, v5, v1
	v_mul_lo_u32 v6, v2, s2
	v_add_u32_e32 v7, 1, v2
	v_mul_lo_u32 v8, v1, s2
	v_sub_u32_e32 v0, v0, v6
	v_cmp_le_u32_e32 vcc, s2, v0
	v_subrev_u32_e32 v6, s2, v0
	v_cndmask_b32_e32 v2, v2, v7, vcc
	v_cndmask_b32_e32 v0, v0, v6, vcc
	v_add_u32_e32 v6, 1, v2
	v_cmp_le_u32_e32 vcc, s2, v0
	v_cndmask_b32_e32 v0, v2, v6, vcc
	v_xor_b32_e32 v0, v0, v3
	v_sub_u32_e32 v2, v5, v8
	v_sub_u32_e32 v0, v0, v3
	v_add_u32_e32 v3, 1, v1
	v_cmp_le_u32_e32 vcc, s2, v2
	v_cndmask_b32_e32 v1, v1, v3, vcc
	v_subrev_u32_e32 v3, s2, v2
	v_cndmask_b32_e32 v2, v2, v3, vcc
	v_add_u32_e32 v3, 1, v1
	v_cmp_le_u32_e32 vcc, s2, v2
	v_cndmask_b32_e32 v1, v1, v3, vcc
	v_xor_b32_e32 v1, v1, v4
	v_sub_u32_e32 v3, v1, v4
	v_cmp_lt_i32_e32 vcc, v0, v3
	s_and_saveexec_b64 s[0:1], vcc
	s_cbranch_execz .LBB4_3
; %bb.1:
	s_load_dwordx4 s[0:3], s[4:5], 0x0
	s_mov_b64 s[4:5], 0
	s_mov_b32 s6, 0x2aaaaaab
	s_mov_b32 s7, 0x38e38e39
	s_movk_i32 s8, 0x900
	s_waitcnt lgkmcnt(0)
	v_mov_b32_e32 v2, s1
	v_mov_b32_e32 v4, s3
	v_mov_b32_e32 v1, s0
	s_movk_i32 s0, 0x60
.LBB4_2:                                ; =>This Inner Loop Header: Depth=1
	v_mul_hi_i32 v5, v0, s6
	v_mul_hi_i32 v6, v0, s7
	v_lshrrev_b32_e32 v7, 31, v5
	v_lshrrev_b32_e32 v8, 31, v6
	v_ashrrev_i32_e32 v6, 5, v6
	v_add_u32_e32 v9, v5, v7
	v_add_u32_e32 v10, v6, v8
	v_mul_hi_i32 v7, v9, s6
	v_mul_hi_i32 v8, v10, s6
	v_mad_u64_u32 v[5:6], s[10:11], v9, -6, v[0:1]
	v_lshrrev_b32_e32 v11, 31, v7
	v_lshrrev_b32_e32 v12, 2, v7
	;; [unrolled: 1-line block ×4, first 2 shown]
	v_ashrrev_i32_e32 v6, 31, v5
	v_add_u32_e32 v11, v12, v11
	v_mad_i64_i32 v[7:8], s[10:11], v5, s8, v[1:2]
	v_add_u32_e32 v12, v14, v13
	v_lshlrev_b64 v[5:6], 2, v[5:6]
	v_mul_lo_u32 v11, v11, 24
	v_mul_lo_u32 v12, v12, 24
	v_add_co_u32_e32 v5, vcc, s2, v5
	v_addc_co_u32_e32 v6, vcc, v4, v6, vcc
	global_load_dword v13, v[5:6], off
	v_sub_u32_e32 v6, v9, v11
	v_sub_u32_e32 v5, v10, v12
	v_mad_i64_i32 v[7:8], s[10:11], v6, s0, v[7:8]
	v_ashrrev_i32_e32 v6, 31, v5
	v_lshlrev_b64 v[5:6], 2, v[5:6]
	v_add_u32_e32 v0, 1, v0
	v_add_co_u32_e32 v5, vcc, v7, v5
	v_addc_co_u32_e32 v6, vcc, v8, v6, vcc
	global_load_dword v7, v[5:6], off
	v_cmp_ge_i32_e32 vcc, v0, v3
	s_or_b64 s[4:5], vcc, s[4:5]
	s_waitcnt vmcnt(0)
	v_add_f32_e32 v7, v13, v7
	global_store_dword v[5:6], v7, off
	s_andn2_b64 exec, exec, s[4:5]
	s_cbranch_execnz .LBB4_2
.LBB4_3:
	s_endpgm
	.section	.rodata,"a",@progbits
	.p2align	6, 0x0
	.amdhsa_kernel _Z10fp_bias_c1PA24_A24_fPf
		.amdhsa_group_segment_fixed_size 0
		.amdhsa_private_segment_fixed_size 0
		.amdhsa_kernarg_size 272
		.amdhsa_user_sgpr_count 6
		.amdhsa_user_sgpr_private_segment_buffer 1
		.amdhsa_user_sgpr_dispatch_ptr 0
		.amdhsa_user_sgpr_queue_ptr 0
		.amdhsa_user_sgpr_kernarg_segment_ptr 1
		.amdhsa_user_sgpr_dispatch_id 0
		.amdhsa_user_sgpr_flat_scratch_init 0
		.amdhsa_user_sgpr_private_segment_size 0
		.amdhsa_uses_dynamic_stack 0
		.amdhsa_system_sgpr_private_segment_wavefront_offset 0
		.amdhsa_system_sgpr_workgroup_id_x 1
		.amdhsa_system_sgpr_workgroup_id_y 0
		.amdhsa_system_sgpr_workgroup_id_z 0
		.amdhsa_system_sgpr_workgroup_info 0
		.amdhsa_system_vgpr_workitem_id 0
		.amdhsa_next_free_vgpr 15
		.amdhsa_next_free_sgpr 12
		.amdhsa_reserve_vcc 1
		.amdhsa_reserve_flat_scratch 0
		.amdhsa_float_round_mode_32 0
		.amdhsa_float_round_mode_16_64 0
		.amdhsa_float_denorm_mode_32 3
		.amdhsa_float_denorm_mode_16_64 3
		.amdhsa_dx10_clamp 1
		.amdhsa_ieee_mode 1
		.amdhsa_fp16_overflow 0
		.amdhsa_exception_fp_ieee_invalid_op 0
		.amdhsa_exception_fp_denorm_src 0
		.amdhsa_exception_fp_ieee_div_zero 0
		.amdhsa_exception_fp_ieee_overflow 0
		.amdhsa_exception_fp_ieee_underflow 0
		.amdhsa_exception_fp_ieee_inexact 0
		.amdhsa_exception_int_div_zero 0
	.end_amdhsa_kernel
	.text
.Lfunc_end4:
	.size	_Z10fp_bias_c1PA24_A24_fPf, .Lfunc_end4-_Z10fp_bias_c1PA24_A24_fPf
                                        ; -- End function
	.set _Z10fp_bias_c1PA24_A24_fPf.num_vgpr, 15
	.set _Z10fp_bias_c1PA24_A24_fPf.num_agpr, 0
	.set _Z10fp_bias_c1PA24_A24_fPf.numbered_sgpr, 12
	.set _Z10fp_bias_c1PA24_A24_fPf.num_named_barrier, 0
	.set _Z10fp_bias_c1PA24_A24_fPf.private_seg_size, 0
	.set _Z10fp_bias_c1PA24_A24_fPf.uses_vcc, 1
	.set _Z10fp_bias_c1PA24_A24_fPf.uses_flat_scratch, 0
	.set _Z10fp_bias_c1PA24_A24_fPf.has_dyn_sized_stack, 0
	.set _Z10fp_bias_c1PA24_A24_fPf.has_recursion, 0
	.set _Z10fp_bias_c1PA24_A24_fPf.has_indirect_call, 0
	.section	.AMDGPU.csdata,"",@progbits
; Kernel info:
; codeLenInByte = 552
; TotalNumSgprs: 16
; NumVgprs: 15
; ScratchSize: 0
; MemoryBound: 0
; FloatMode: 240
; IeeeMode: 1
; LDSByteSize: 0 bytes/workgroup (compile time only)
; SGPRBlocks: 1
; VGPRBlocks: 3
; NumSGPRsForWavesPerEU: 16
; NumVGPRsForWavesPerEU: 15
; Occupancy: 10
; WaveLimiterHint : 0
; COMPUTE_PGM_RSRC2:SCRATCH_EN: 0
; COMPUTE_PGM_RSRC2:USER_SGPR: 6
; COMPUTE_PGM_RSRC2:TRAP_HANDLER: 0
; COMPUTE_PGM_RSRC2:TGID_X_EN: 1
; COMPUTE_PGM_RSRC2:TGID_Y_EN: 0
; COMPUTE_PGM_RSRC2:TGID_Z_EN: 0
; COMPUTE_PGM_RSRC2:TIDIG_COMP_CNT: 0
	.text
	.protected	_Z12fp_preact_s1PA24_A24_fPA6_A6_fPA4_A4_f ; -- Begin function _Z12fp_preact_s1PA24_A24_fPA6_A6_fPA4_A4_f
	.globl	_Z12fp_preact_s1PA24_A24_fPA6_A6_fPA4_A4_f
	.p2align	8
	.type	_Z12fp_preact_s1PA24_A24_fPA6_A6_fPA4_A4_f,@function
_Z12fp_preact_s1PA24_A24_fPA6_A6_fPA4_A4_f: ; @_Z12fp_preact_s1PA24_A24_fPA6_A6_fPA4_A4_f
; %bb.0:
	s_load_dword s0, s[4:5], 0x24
	s_load_dword s1, s[4:5], 0x18
	s_movk_i32 s3, 0xd80
	s_waitcnt lgkmcnt(0)
	s_and_b32 s0, s0, 0xffff
	s_mul_i32 s1, s1, s0
	s_abs_i32 s2, s1
	v_cvt_f32_u32_e32 v1, s2
	s_mul_i32 s6, s6, s0
	s_ashr_i32 s0, s1, 31
	s_sub_i32 s1, 0, s2
	v_rcp_iflag_f32_e32 v1, v1
	v_add_u32_e32 v0, s6, v0
	v_mul_lo_u32 v0, v0, s3
	v_mul_f32_e32 v1, 0x4f7ffffe, v1
	v_cvt_u32_f32_e32 v1, v1
	v_sub_u32_e32 v4, 0, v0
	v_ashrrev_i32_e32 v3, 31, v0
	v_add_u32_e32 v5, 0xd80, v0
	v_mul_lo_u32 v2, s1, v1
	v_sub_u32_e32 v6, 0xfffff280, v0
	v_max_i32_e32 v0, v0, v4
	v_ashrrev_i32_e32 v4, 31, v5
	v_mul_hi_u32 v2, v1, v2
	v_max_i32_e32 v5, v5, v6
	v_xor_b32_e32 v3, s0, v3
	v_xor_b32_e32 v4, s0, v4
	v_add_u32_e32 v1, v1, v2
	v_mul_hi_u32 v2, v0, v1
	v_mul_hi_u32 v1, v5, v1
	v_mul_lo_u32 v6, v2, s2
	v_add_u32_e32 v7, 1, v2
	v_mul_lo_u32 v9, v1, s2
	v_sub_u32_e32 v0, v0, v6
	v_cmp_le_u32_e32 vcc, s2, v0
	v_subrev_u32_e32 v6, s2, v0
	v_cndmask_b32_e32 v2, v2, v7, vcc
	v_cndmask_b32_e32 v0, v0, v6, vcc
	v_add_u32_e32 v6, 1, v2
	v_cmp_le_u32_e32 vcc, s2, v0
	v_cndmask_b32_e32 v0, v2, v6, vcc
	v_xor_b32_e32 v0, v0, v3
	v_sub_u32_e32 v8, v0, v3
	v_sub_u32_e32 v0, v5, v9
	v_add_u32_e32 v2, 1, v1
	v_cmp_le_u32_e32 vcc, s2, v0
	v_cndmask_b32_e32 v1, v1, v2, vcc
	v_subrev_u32_e32 v2, s2, v0
	v_cndmask_b32_e32 v0, v0, v2, vcc
	v_add_u32_e32 v2, 1, v1
	v_cmp_le_u32_e32 vcc, s2, v0
	v_cndmask_b32_e32 v0, v1, v2, vcc
	v_xor_b32_e32 v0, v0, v4
	v_sub_u32_e32 v9, v0, v4
	v_cmp_lt_i32_e32 vcc, v8, v9
	s_and_saveexec_b64 s[0:1], vcc
	s_cbranch_execz .LBB5_5
; %bb.1:
	s_load_dwordx4 s[12:15], s[4:5], 0x0
	s_load_dwordx2 s[0:1], s[4:5], 0x10
	s_mov_b64 s[2:3], 0
	s_mov_b32 s6, 0x2aaaaaab
	s_mov_b32 s7, 0x38e38e39
	s_waitcnt lgkmcnt(0)
	v_mov_b32_e32 v0, s14
	v_mov_b32_e32 v2, s12
	s_movk_i32 s8, 0x90
	v_mov_b32_e32 v1, s15
	v_mov_b32_e32 v10, s1
	s_movk_i32 s1, 0x900
	v_mov_b32_e32 v3, s13
	s_movk_i32 s9, 0x60
.LBB5_2:                                ; =>This Loop Header: Depth=1
                                        ;     Child Loop BB5_3 Depth 2
	v_ashrrev_i32_e32 v4, 31, v8
	v_lshrrev_b32_e32 v5, 30, v4
	v_lshrrev_b32_e32 v4, 28, v4
	v_add_u32_e32 v4, v8, v4
	v_ashrrev_i32_e32 v7, 4, v4
	v_mul_hi_i32 v11, v7, s6
	v_add_u32_e32 v5, v8, v5
	v_ashrrev_i32_e32 v6, 2, v5
	v_and_b32_e32 v5, -4, v5
	v_lshrrev_b32_e32 v12, 31, v11
	v_add_u32_e32 v11, v11, v12
	v_mul_lo_u32 v11, v11, 6
	v_mul_hi_i32 v12, v8, s6
	v_sub_u32_e32 v4, v8, v5
	v_lshrrev_b32_e32 v5, 30, v6
	v_add_u32_e32 v5, v6, v5
	v_sub_u32_e32 v17, v7, v11
	v_mul_hi_i32 v7, v8, s7
	v_and_b32_e32 v5, -4, v5
	v_sub_u32_e32 v6, v6, v5
	v_lshrrev_b32_e32 v5, 31, v12
	v_ashrrev_i32_e32 v11, 4, v12
	v_add_u32_e32 v15, v11, v5
	v_mul_hi_i32 v5, v15, s6
	v_lshrrev_b32_e32 v11, 31, v7
	v_ashrrev_i32_e32 v7, 7, v7
	v_add_u32_e32 v16, v7, v11
	v_mul_hi_i32 v7, v16, s6
	v_lshrrev_b32_e32 v11, 31, v5
	v_add_u32_e32 v5, v5, v11
	v_mul_lo_u32 v18, v5, 6
	v_lshrrev_b32_e32 v5, 31, v7
	v_add_u32_e32 v5, v7, v5
	v_mul_lo_u32 v19, v5, 6
	v_ashrrev_i32_e32 v5, 31, v4
	v_lshlrev_b64 v[11:12], 4, v[4:5]
	v_ashrrev_i32_e32 v7, 31, v6
	v_add_co_u32_e32 v5, vcc, s0, v11
	v_addc_co_u32_e32 v13, vcc, v10, v12, vcc
	v_lshlrev_b64 v[11:12], 2, v[6:7]
	v_add_co_u32_e32 v11, vcc, v5, v11
	v_addc_co_u32_e32 v12, vcc, v13, v12, vcc
	v_mad_i64_i32 v[13:14], s[4:5], v17, s8, v[0:1]
	v_sub_u32_e32 v5, v15, v18
	global_load_dword v18, v[11:12], off
	v_mad_i64_i32 v[11:12], s[4:5], v17, s1, v[2:3]
	v_sub_u32_e32 v15, v16, v19
	v_lshl_add_u32 v4, v5, 2, v4
	v_mad_i64_i32 v[13:14], s[4:5], v5, 24, v[13:14]
	v_mad_i64_i32 v[4:5], s[4:5], v4, s9, v[11:12]
	v_lshl_add_u32 v6, v15, 2, v6
	v_ashrrev_i32_e32 v7, 31, v6
	v_lshlrev_b64 v[6:7], 2, v[6:7]
	v_ashrrev_i32_e32 v16, 31, v15
	v_lshlrev_b64 v[16:17], 2, v[15:16]
	v_add_co_u32_e32 v4, vcc, v4, v6
	v_addc_co_u32_e32 v5, vcc, v5, v7, vcc
	global_load_dword v6, v[4:5], off
	v_add_co_u32_e32 v4, vcc, v13, v16
	v_addc_co_u32_e32 v5, vcc, v14, v17, vcc
	global_load_dword v7, v[4:5], off
	s_mov_b64 s[4:5], 0
	s_waitcnt vmcnt(1)
	v_mul_f32_e32 v11, v18, v6
.LBB5_3:                                ;   Parent Loop BB5_2 Depth=1
                                        ; =>  This Inner Loop Header: Depth=2
	s_waitcnt vmcnt(0)
	v_add_f32_e32 v6, v7, v11
	global_atomic_cmpswap v6, v[4:5], v[6:7], off glc
	s_waitcnt vmcnt(0)
	v_cmp_eq_u32_e32 vcc, v6, v7
	s_or_b64 s[4:5], vcc, s[4:5]
	v_mov_b32_e32 v7, v6
	s_andn2_b64 exec, exec, s[4:5]
	s_cbranch_execnz .LBB5_3
; %bb.4:                                ;   in Loop: Header=BB5_2 Depth=1
	s_or_b64 exec, exec, s[4:5]
	v_add_u32_e32 v8, 1, v8
	v_cmp_ge_i32_e32 vcc, v8, v9
	s_or_b64 s[2:3], vcc, s[2:3]
	s_andn2_b64 exec, exec, s[2:3]
	s_cbranch_execnz .LBB5_2
.LBB5_5:
	s_endpgm
	.section	.rodata,"a",@progbits
	.p2align	6, 0x0
	.amdhsa_kernel _Z12fp_preact_s1PA24_A24_fPA6_A6_fPA4_A4_f
		.amdhsa_group_segment_fixed_size 0
		.amdhsa_private_segment_fixed_size 0
		.amdhsa_kernarg_size 280
		.amdhsa_user_sgpr_count 6
		.amdhsa_user_sgpr_private_segment_buffer 1
		.amdhsa_user_sgpr_dispatch_ptr 0
		.amdhsa_user_sgpr_queue_ptr 0
		.amdhsa_user_sgpr_kernarg_segment_ptr 1
		.amdhsa_user_sgpr_dispatch_id 0
		.amdhsa_user_sgpr_flat_scratch_init 0
		.amdhsa_user_sgpr_private_segment_size 0
		.amdhsa_uses_dynamic_stack 0
		.amdhsa_system_sgpr_private_segment_wavefront_offset 0
		.amdhsa_system_sgpr_workgroup_id_x 1
		.amdhsa_system_sgpr_workgroup_id_y 0
		.amdhsa_system_sgpr_workgroup_id_z 0
		.amdhsa_system_sgpr_workgroup_info 0
		.amdhsa_system_vgpr_workitem_id 0
		.amdhsa_next_free_vgpr 20
		.amdhsa_next_free_sgpr 16
		.amdhsa_reserve_vcc 1
		.amdhsa_reserve_flat_scratch 0
		.amdhsa_float_round_mode_32 0
		.amdhsa_float_round_mode_16_64 0
		.amdhsa_float_denorm_mode_32 3
		.amdhsa_float_denorm_mode_16_64 3
		.amdhsa_dx10_clamp 1
		.amdhsa_ieee_mode 1
		.amdhsa_fp16_overflow 0
		.amdhsa_exception_fp_ieee_invalid_op 0
		.amdhsa_exception_fp_denorm_src 0
		.amdhsa_exception_fp_ieee_div_zero 0
		.amdhsa_exception_fp_ieee_overflow 0
		.amdhsa_exception_fp_ieee_underflow 0
		.amdhsa_exception_fp_ieee_inexact 0
		.amdhsa_exception_int_div_zero 0
	.end_amdhsa_kernel
	.text
.Lfunc_end5:
	.size	_Z12fp_preact_s1PA24_A24_fPA6_A6_fPA4_A4_f, .Lfunc_end5-_Z12fp_preact_s1PA24_A24_fPA6_A6_fPA4_A4_f
                                        ; -- End function
	.set _Z12fp_preact_s1PA24_A24_fPA6_A6_fPA4_A4_f.num_vgpr, 20
	.set _Z12fp_preact_s1PA24_A24_fPA6_A6_fPA4_A4_f.num_agpr, 0
	.set _Z12fp_preact_s1PA24_A24_fPA6_A6_fPA4_A4_f.numbered_sgpr, 16
	.set _Z12fp_preact_s1PA24_A24_fPA6_A6_fPA4_A4_f.num_named_barrier, 0
	.set _Z12fp_preact_s1PA24_A24_fPA6_A6_fPA4_A4_f.private_seg_size, 0
	.set _Z12fp_preact_s1PA24_A24_fPA6_A6_fPA4_A4_f.uses_vcc, 1
	.set _Z12fp_preact_s1PA24_A24_fPA6_A6_fPA4_A4_f.uses_flat_scratch, 0
	.set _Z12fp_preact_s1PA24_A24_fPA6_A6_fPA4_A4_f.has_dyn_sized_stack, 0
	.set _Z12fp_preact_s1PA24_A24_fPA6_A6_fPA4_A4_f.has_recursion, 0
	.set _Z12fp_preact_s1PA24_A24_fPA6_A6_fPA4_A4_f.has_indirect_call, 0
	.section	.AMDGPU.csdata,"",@progbits
; Kernel info:
; codeLenInByte = 760
; TotalNumSgprs: 20
; NumVgprs: 20
; ScratchSize: 0
; MemoryBound: 0
; FloatMode: 240
; IeeeMode: 1
; LDSByteSize: 0 bytes/workgroup (compile time only)
; SGPRBlocks: 2
; VGPRBlocks: 4
; NumSGPRsForWavesPerEU: 20
; NumVGPRsForWavesPerEU: 20
; Occupancy: 10
; WaveLimiterHint : 0
; COMPUTE_PGM_RSRC2:SCRATCH_EN: 0
; COMPUTE_PGM_RSRC2:USER_SGPR: 6
; COMPUTE_PGM_RSRC2:TRAP_HANDLER: 0
; COMPUTE_PGM_RSRC2:TGID_X_EN: 1
; COMPUTE_PGM_RSRC2:TGID_Y_EN: 0
; COMPUTE_PGM_RSRC2:TGID_Z_EN: 0
; COMPUTE_PGM_RSRC2:TIDIG_COMP_CNT: 0
	.text
	.protected	_Z10fp_bias_s1PA6_A6_fPf ; -- Begin function _Z10fp_bias_s1PA6_A6_fPf
	.globl	_Z10fp_bias_s1PA6_A6_fPf
	.p2align	8
	.type	_Z10fp_bias_s1PA6_A6_fPf,@function
_Z10fp_bias_s1PA6_A6_fPf:               ; @_Z10fp_bias_s1PA6_A6_fPf
; %bb.0:
	s_load_dword s0, s[4:5], 0x1c
	s_load_dword s1, s[4:5], 0x10
	s_movk_i32 s3, 0xd8
	s_waitcnt lgkmcnt(0)
	s_and_b32 s0, s0, 0xffff
	s_mul_i32 s1, s1, s0
	s_abs_i32 s2, s1
	v_cvt_f32_u32_e32 v1, s2
	s_mul_i32 s6, s6, s0
	s_ashr_i32 s0, s1, 31
	s_sub_i32 s1, 0, s2
	v_rcp_iflag_f32_e32 v1, v1
	v_add_u32_e32 v0, s6, v0
	v_mul_lo_u32 v0, v0, s3
	v_mul_f32_e32 v1, 0x4f7ffffe, v1
	v_cvt_u32_f32_e32 v1, v1
	v_sub_u32_e32 v4, 0, v0
	v_ashrrev_i32_e32 v3, 31, v0
	v_add_u32_e32 v5, 0xd8, v0
	v_mul_lo_u32 v2, s1, v1
	v_sub_u32_e32 v6, 0xffffff28, v0
	v_max_i32_e32 v0, v0, v4
	v_ashrrev_i32_e32 v4, 31, v5
	v_mul_hi_u32 v2, v1, v2
	v_max_i32_e32 v5, v5, v6
	v_xor_b32_e32 v3, s0, v3
	v_xor_b32_e32 v4, s0, v4
	v_add_u32_e32 v1, v1, v2
	v_mul_hi_u32 v2, v0, v1
	v_mul_hi_u32 v1, v5, v1
	v_mul_lo_u32 v6, v2, s2
	v_add_u32_e32 v7, 1, v2
	v_mul_lo_u32 v8, v1, s2
	v_sub_u32_e32 v0, v0, v6
	v_cmp_le_u32_e32 vcc, s2, v0
	v_subrev_u32_e32 v6, s2, v0
	v_cndmask_b32_e32 v2, v2, v7, vcc
	v_cndmask_b32_e32 v0, v0, v6, vcc
	v_add_u32_e32 v6, 1, v2
	v_cmp_le_u32_e32 vcc, s2, v0
	v_cndmask_b32_e32 v0, v2, v6, vcc
	v_xor_b32_e32 v0, v0, v3
	v_sub_u32_e32 v2, v5, v8
	v_sub_u32_e32 v0, v0, v3
	v_add_u32_e32 v3, 1, v1
	v_cmp_le_u32_e32 vcc, s2, v2
	v_cndmask_b32_e32 v1, v1, v3, vcc
	v_subrev_u32_e32 v3, s2, v2
	v_cndmask_b32_e32 v2, v2, v3, vcc
	v_add_u32_e32 v3, 1, v1
	v_cmp_le_u32_e32 vcc, s2, v2
	v_cndmask_b32_e32 v1, v1, v3, vcc
	v_xor_b32_e32 v1, v1, v4
	v_sub_u32_e32 v3, v1, v4
	v_cmp_lt_i32_e32 vcc, v0, v3
	s_and_saveexec_b64 s[0:1], vcc
	s_cbranch_execz .LBB6_3
; %bb.1:
	s_load_dwordx4 s[0:3], s[4:5], 0x0
	s_mov_b64 s[4:5], 0
	s_mov_b32 s6, 0x2aaaaaab
	s_mov_b32 s7, 0x38e38e39
	v_mov_b32_e32 v4, 0
	s_waitcnt lgkmcnt(0)
	v_mov_b32_e32 v2, s1
	s_movk_i32 s8, 0x90
	v_mov_b32_e32 v1, s0
.LBB6_2:                                ; =>This Inner Loop Header: Depth=1
	v_mul_hi_i32 v5, v0, s6
	v_mul_hi_i32 v6, v0, s7
	global_load_dword v9, v4, s[2:3]
	v_lshrrev_b32_e32 v7, 31, v5
	v_lshrrev_b32_e32 v8, 31, v6
	v_ashrrev_i32_e32 v6, 3, v6
	v_add_u32_e32 v7, v5, v7
	v_add_u32_e32 v8, v6, v8
	v_mul_hi_i32 v10, v7, s6
	v_mul_hi_i32 v11, v8, s6
	v_mad_u64_u32 v[5:6], s[0:1], v7, -6, v[0:1]
	v_lshrrev_b32_e32 v12, 31, v10
	v_lshrrev_b32_e32 v13, 31, v11
	v_add_u32_e32 v10, v10, v12
	v_add_u32_e32 v11, v11, v13
	v_mul_lo_u32 v10, v10, 6
	v_mad_i64_i32 v[5:6], s[0:1], v5, s8, v[1:2]
	v_mul_lo_u32 v11, v11, 6
	v_sub_u32_e32 v10, v7, v10
	v_mad_i64_i32 v[5:6], s[0:1], v10, 24, v[5:6]
	v_sub_u32_e32 v7, v8, v11
	v_ashrrev_i32_e32 v8, 31, v7
	v_lshlrev_b64 v[7:8], 2, v[7:8]
	v_add_u32_e32 v0, 1, v0
	v_add_co_u32_e32 v5, vcc, v5, v7
	v_addc_co_u32_e32 v6, vcc, v6, v8, vcc
	global_load_dword v7, v[5:6], off
	v_cmp_ge_i32_e32 vcc, v0, v3
	s_or_b64 s[4:5], vcc, s[4:5]
	s_waitcnt vmcnt(0)
	v_add_f32_e32 v7, v9, v7
	global_store_dword v[5:6], v7, off
	s_andn2_b64 exec, exec, s[4:5]
	s_cbranch_execnz .LBB6_2
.LBB6_3:
	s_endpgm
	.section	.rodata,"a",@progbits
	.p2align	6, 0x0
	.amdhsa_kernel _Z10fp_bias_s1PA6_A6_fPf
		.amdhsa_group_segment_fixed_size 0
		.amdhsa_private_segment_fixed_size 0
		.amdhsa_kernarg_size 272
		.amdhsa_user_sgpr_count 6
		.amdhsa_user_sgpr_private_segment_buffer 1
		.amdhsa_user_sgpr_dispatch_ptr 0
		.amdhsa_user_sgpr_queue_ptr 0
		.amdhsa_user_sgpr_kernarg_segment_ptr 1
		.amdhsa_user_sgpr_dispatch_id 0
		.amdhsa_user_sgpr_flat_scratch_init 0
		.amdhsa_user_sgpr_private_segment_size 0
		.amdhsa_uses_dynamic_stack 0
		.amdhsa_system_sgpr_private_segment_wavefront_offset 0
		.amdhsa_system_sgpr_workgroup_id_x 1
		.amdhsa_system_sgpr_workgroup_id_y 0
		.amdhsa_system_sgpr_workgroup_id_z 0
		.amdhsa_system_sgpr_workgroup_info 0
		.amdhsa_system_vgpr_workitem_id 0
		.amdhsa_next_free_vgpr 14
		.amdhsa_next_free_sgpr 9
		.amdhsa_reserve_vcc 1
		.amdhsa_reserve_flat_scratch 0
		.amdhsa_float_round_mode_32 0
		.amdhsa_float_round_mode_16_64 0
		.amdhsa_float_denorm_mode_32 3
		.amdhsa_float_denorm_mode_16_64 3
		.amdhsa_dx10_clamp 1
		.amdhsa_ieee_mode 1
		.amdhsa_fp16_overflow 0
		.amdhsa_exception_fp_ieee_invalid_op 0
		.amdhsa_exception_fp_denorm_src 0
		.amdhsa_exception_fp_ieee_div_zero 0
		.amdhsa_exception_fp_ieee_overflow 0
		.amdhsa_exception_fp_ieee_underflow 0
		.amdhsa_exception_fp_ieee_inexact 0
		.amdhsa_exception_int_div_zero 0
	.end_amdhsa_kernel
	.text
.Lfunc_end6:
	.size	_Z10fp_bias_s1PA6_A6_fPf, .Lfunc_end6-_Z10fp_bias_s1PA6_A6_fPf
                                        ; -- End function
	.set _Z10fp_bias_s1PA6_A6_fPf.num_vgpr, 14
	.set _Z10fp_bias_s1PA6_A6_fPf.num_agpr, 0
	.set _Z10fp_bias_s1PA6_A6_fPf.numbered_sgpr, 9
	.set _Z10fp_bias_s1PA6_A6_fPf.num_named_barrier, 0
	.set _Z10fp_bias_s1PA6_A6_fPf.private_seg_size, 0
	.set _Z10fp_bias_s1PA6_A6_fPf.uses_vcc, 1
	.set _Z10fp_bias_s1PA6_A6_fPf.uses_flat_scratch, 0
	.set _Z10fp_bias_s1PA6_A6_fPf.has_dyn_sized_stack, 0
	.set _Z10fp_bias_s1PA6_A6_fPf.has_recursion, 0
	.set _Z10fp_bias_s1PA6_A6_fPf.has_indirect_call, 0
	.section	.AMDGPU.csdata,"",@progbits
; Kernel info:
; codeLenInByte = 520
; TotalNumSgprs: 13
; NumVgprs: 14
; ScratchSize: 0
; MemoryBound: 0
; FloatMode: 240
; IeeeMode: 1
; LDSByteSize: 0 bytes/workgroup (compile time only)
; SGPRBlocks: 1
; VGPRBlocks: 3
; NumSGPRsForWavesPerEU: 13
; NumVGPRsForWavesPerEU: 14
; Occupancy: 10
; WaveLimiterHint : 0
; COMPUTE_PGM_RSRC2:SCRATCH_EN: 0
; COMPUTE_PGM_RSRC2:USER_SGPR: 6
; COMPUTE_PGM_RSRC2:TRAP_HANDLER: 0
; COMPUTE_PGM_RSRC2:TGID_X_EN: 1
; COMPUTE_PGM_RSRC2:TGID_Y_EN: 0
; COMPUTE_PGM_RSRC2:TGID_Z_EN: 0
; COMPUTE_PGM_RSRC2:TIDIG_COMP_CNT: 0
	.text
	.protected	_Z11fp_preact_fPA6_A6_fPfPA6_S0_ ; -- Begin function _Z11fp_preact_fPA6_A6_fPfPA6_S0_
	.globl	_Z11fp_preact_fPA6_A6_fPfPA6_S0_
	.p2align	8
	.type	_Z11fp_preact_fPA6_A6_fPfPA6_S0_,@function
_Z11fp_preact_fPA6_A6_fPfPA6_S0_:       ; @_Z11fp_preact_fPA6_A6_fPfPA6_S0_
; %bb.0:
	s_load_dword s0, s[4:5], 0x24
	s_load_dword s1, s[4:5], 0x18
	s_movk_i32 s3, 0x870
	s_waitcnt lgkmcnt(0)
	s_and_b32 s0, s0, 0xffff
	s_mul_i32 s1, s1, s0
	s_abs_i32 s2, s1
	v_cvt_f32_u32_e32 v1, s2
	s_mul_i32 s6, s6, s0
	s_ashr_i32 s0, s1, 31
	s_sub_i32 s1, 0, s2
	v_rcp_iflag_f32_e32 v1, v1
	v_add_u32_e32 v0, s6, v0
	v_mul_lo_u32 v0, v0, s3
	v_mul_f32_e32 v1, 0x4f7ffffe, v1
	v_cvt_u32_f32_e32 v1, v1
	v_sub_u32_e32 v4, 0, v0
	v_ashrrev_i32_e32 v3, 31, v0
	v_add_u32_e32 v5, 0x870, v0
	v_mul_lo_u32 v2, s1, v1
	v_sub_u32_e32 v6, 0xfffff790, v0
	v_max_i32_e32 v0, v0, v4
	v_ashrrev_i32_e32 v4, 31, v5
	v_mul_hi_u32 v2, v1, v2
	v_max_i32_e32 v5, v5, v6
	v_xor_b32_e32 v3, s0, v3
	v_xor_b32_e32 v4, s0, v4
	v_add_u32_e32 v1, v1, v2
	v_mul_hi_u32 v2, v0, v1
	v_mul_hi_u32 v1, v5, v1
	v_mul_lo_u32 v6, v2, s2
	v_add_u32_e32 v7, 1, v2
	v_mul_lo_u32 v9, v1, s2
	v_sub_u32_e32 v0, v0, v6
	v_cmp_le_u32_e32 vcc, s2, v0
	v_subrev_u32_e32 v6, s2, v0
	v_cndmask_b32_e32 v2, v2, v7, vcc
	v_cndmask_b32_e32 v0, v0, v6, vcc
	v_add_u32_e32 v6, 1, v2
	v_cmp_le_u32_e32 vcc, s2, v0
	v_cndmask_b32_e32 v0, v2, v6, vcc
	v_xor_b32_e32 v0, v0, v3
	v_sub_u32_e32 v8, v0, v3
	v_sub_u32_e32 v0, v5, v9
	v_add_u32_e32 v2, 1, v1
	v_cmp_le_u32_e32 vcc, s2, v0
	v_cndmask_b32_e32 v1, v1, v2, vcc
	v_subrev_u32_e32 v2, s2, v0
	v_cndmask_b32_e32 v0, v0, v2, vcc
	v_add_u32_e32 v2, 1, v1
	v_cmp_le_u32_e32 vcc, s2, v0
	v_cndmask_b32_e32 v0, v1, v2, vcc
	v_xor_b32_e32 v0, v0, v4
	v_sub_u32_e32 v9, v0, v4
	v_cmp_lt_i32_e32 vcc, v8, v9
	s_and_saveexec_b64 s[0:1], vcc
	s_cbranch_execz .LBB7_5
; %bb.1:
	s_load_dwordx4 s[0:3], s[4:5], 0x0
	s_load_dwordx2 s[10:11], s[4:5], 0x10
	s_mov_b64 s[4:5], 0
	s_mov_b32 s6, 0x66666667
	s_mov_b32 s7, 0x2aaaaaab
	s_waitcnt lgkmcnt(0)
	v_mov_b32_e32 v3, s1
	v_mov_b32_e32 v0, s10
	s_mov_b32 s8, 0x88888889
	s_mov_b32 s9, 0xb60b60b7
	v_mov_b32_e32 v10, s3
	s_movk_i32 s3, 0x360
	v_mov_b32_e32 v1, s11
	s_movk_i32 s10, 0x90
	v_mov_b32_e32 v2, s0
.LBB7_2:                                ; =>This Loop Header: Depth=1
                                        ;     Child Loop BB7_3 Depth 2
	v_mul_hi_i32 v4, v8, s6
	v_mul_hi_i32 v5, v8, s8
	;; [unrolled: 1-line block ×3, first 2 shown]
	v_lshrrev_b32_e32 v7, 31, v4
	v_ashrrev_i32_e32 v4, 2, v4
	v_add_u32_e32 v7, v4, v7
	v_mul_hi_i32 v4, v7, s7
	v_mul_lo_u32 v12, v7, 10
	v_add_u32_e32 v5, v5, v8
	v_lshrrev_b32_e32 v11, 31, v5
	v_lshrrev_b32_e32 v13, 31, v4
	v_add_u32_e32 v4, v4, v13
	v_mul_lo_u32 v13, v4, 6
	v_ashrrev_i32_e32 v4, 5, v5
	v_add_u32_e32 v11, v4, v11
	v_add_u32_e32 v6, v6, v8
	v_sub_u32_e32 v4, v8, v12
	v_sub_u32_e32 v12, v7, v13
	v_mul_hi_i32 v5, v11, s7
	v_lshrrev_b32_e32 v7, 31, v6
	v_ashrrev_i32_e32 v6, 8, v6
	v_add_u32_e32 v7, v6, v7
	v_mul_hi_i32 v6, v7, s7
	v_lshrrev_b32_e32 v13, 31, v5
	v_add_u32_e32 v5, v5, v13
	v_mul_lo_u32 v13, v5, 6
	v_lshrrev_b32_e32 v5, 31, v6
	v_add_u32_e32 v5, v6, v5
	v_mul_lo_u32 v14, v5, 6
	v_mad_i64_i32 v[5:6], s[0:1], v4, s3, v[0:1]
	v_sub_u32_e32 v15, v11, v13
	v_sub_u32_e32 v11, v7, v14
	v_mad_i64_i32 v[6:7], s[0:1], v12, s10, v[5:6]
	v_mad_i64_i32 v[13:14], s[0:1], v12, s10, v[2:3]
	;; [unrolled: 1-line block ×3, first 2 shown]
	v_ashrrev_i32_e32 v12, 31, v11
	v_lshlrev_b64 v[11:12], 2, v[11:12]
	v_mad_i64_i32 v[13:14], s[0:1], v15, 24, v[13:14]
	v_add_co_u32_e32 v6, vcc, v6, v11
	v_ashrrev_i32_e32 v5, 31, v4
	v_addc_co_u32_e32 v7, vcc, v7, v12, vcc
	v_lshlrev_b64 v[4:5], 2, v[4:5]
	global_load_dword v15, v[6:7], off
	v_add_co_u32_e32 v6, vcc, v13, v11
	v_addc_co_u32_e32 v7, vcc, v14, v12, vcc
	v_add_co_u32_e32 v4, vcc, s2, v4
	global_load_dword v6, v[6:7], off
	v_addc_co_u32_e32 v5, vcc, v10, v5, vcc
	global_load_dword v7, v[4:5], off
	s_mov_b64 s[0:1], 0
	s_waitcnt vmcnt(1)
	v_mul_f32_e32 v11, v15, v6
.LBB7_3:                                ;   Parent Loop BB7_2 Depth=1
                                        ; =>  This Inner Loop Header: Depth=2
	s_waitcnt vmcnt(0)
	v_add_f32_e32 v6, v7, v11
	global_atomic_cmpswap v6, v[4:5], v[6:7], off glc
	s_waitcnt vmcnt(0)
	v_cmp_eq_u32_e32 vcc, v6, v7
	s_or_b64 s[0:1], vcc, s[0:1]
	v_mov_b32_e32 v7, v6
	s_andn2_b64 exec, exec, s[0:1]
	s_cbranch_execnz .LBB7_3
; %bb.4:                                ;   in Loop: Header=BB7_2 Depth=1
	s_or_b64 exec, exec, s[0:1]
	v_add_u32_e32 v8, 1, v8
	v_cmp_ge_i32_e32 vcc, v8, v9
	s_or_b64 s[4:5], vcc, s[4:5]
	s_andn2_b64 exec, exec, s[4:5]
	s_cbranch_execnz .LBB7_2
.LBB7_5:
	s_endpgm
	.section	.rodata,"a",@progbits
	.p2align	6, 0x0
	.amdhsa_kernel _Z11fp_preact_fPA6_A6_fPfPA6_S0_
		.amdhsa_group_segment_fixed_size 0
		.amdhsa_private_segment_fixed_size 0
		.amdhsa_kernarg_size 280
		.amdhsa_user_sgpr_count 6
		.amdhsa_user_sgpr_private_segment_buffer 1
		.amdhsa_user_sgpr_dispatch_ptr 0
		.amdhsa_user_sgpr_queue_ptr 0
		.amdhsa_user_sgpr_kernarg_segment_ptr 1
		.amdhsa_user_sgpr_dispatch_id 0
		.amdhsa_user_sgpr_flat_scratch_init 0
		.amdhsa_user_sgpr_private_segment_size 0
		.amdhsa_uses_dynamic_stack 0
		.amdhsa_system_sgpr_private_segment_wavefront_offset 0
		.amdhsa_system_sgpr_workgroup_id_x 1
		.amdhsa_system_sgpr_workgroup_id_y 0
		.amdhsa_system_sgpr_workgroup_id_z 0
		.amdhsa_system_sgpr_workgroup_info 0
		.amdhsa_system_vgpr_workitem_id 0
		.amdhsa_next_free_vgpr 16
		.amdhsa_next_free_sgpr 12
		.amdhsa_reserve_vcc 1
		.amdhsa_reserve_flat_scratch 0
		.amdhsa_float_round_mode_32 0
		.amdhsa_float_round_mode_16_64 0
		.amdhsa_float_denorm_mode_32 3
		.amdhsa_float_denorm_mode_16_64 3
		.amdhsa_dx10_clamp 1
		.amdhsa_ieee_mode 1
		.amdhsa_fp16_overflow 0
		.amdhsa_exception_fp_ieee_invalid_op 0
		.amdhsa_exception_fp_denorm_src 0
		.amdhsa_exception_fp_ieee_div_zero 0
		.amdhsa_exception_fp_ieee_overflow 0
		.amdhsa_exception_fp_ieee_underflow 0
		.amdhsa_exception_fp_ieee_inexact 0
		.amdhsa_exception_int_div_zero 0
	.end_amdhsa_kernel
	.text
.Lfunc_end7:
	.size	_Z11fp_preact_fPA6_A6_fPfPA6_S0_, .Lfunc_end7-_Z11fp_preact_fPA6_A6_fPfPA6_S0_
                                        ; -- End function
	.set _Z11fp_preact_fPA6_A6_fPfPA6_S0_.num_vgpr, 16
	.set _Z11fp_preact_fPA6_A6_fPfPA6_S0_.num_agpr, 0
	.set _Z11fp_preact_fPA6_A6_fPfPA6_S0_.numbered_sgpr, 12
	.set _Z11fp_preact_fPA6_A6_fPfPA6_S0_.num_named_barrier, 0
	.set _Z11fp_preact_fPA6_A6_fPfPA6_S0_.private_seg_size, 0
	.set _Z11fp_preact_fPA6_A6_fPfPA6_S0_.uses_vcc, 1
	.set _Z11fp_preact_fPA6_A6_fPfPA6_S0_.uses_flat_scratch, 0
	.set _Z11fp_preact_fPA6_A6_fPfPA6_S0_.has_dyn_sized_stack, 0
	.set _Z11fp_preact_fPA6_A6_fPfPA6_S0_.has_recursion, 0
	.set _Z11fp_preact_fPA6_A6_fPfPA6_S0_.has_indirect_call, 0
	.section	.AMDGPU.csdata,"",@progbits
; Kernel info:
; codeLenInByte = 720
; TotalNumSgprs: 16
; NumVgprs: 16
; ScratchSize: 0
; MemoryBound: 0
; FloatMode: 240
; IeeeMode: 1
; LDSByteSize: 0 bytes/workgroup (compile time only)
; SGPRBlocks: 1
; VGPRBlocks: 3
; NumSGPRsForWavesPerEU: 16
; NumVGPRsForWavesPerEU: 16
; Occupancy: 10
; WaveLimiterHint : 0
; COMPUTE_PGM_RSRC2:SCRATCH_EN: 0
; COMPUTE_PGM_RSRC2:USER_SGPR: 6
; COMPUTE_PGM_RSRC2:TRAP_HANDLER: 0
; COMPUTE_PGM_RSRC2:TGID_X_EN: 1
; COMPUTE_PGM_RSRC2:TGID_Y_EN: 0
; COMPUTE_PGM_RSRC2:TGID_Z_EN: 0
; COMPUTE_PGM_RSRC2:TIDIG_COMP_CNT: 0
	.text
	.protected	_Z9fp_bias_fPfS_        ; -- Begin function _Z9fp_bias_fPfS_
	.globl	_Z9fp_bias_fPfS_
	.p2align	8
	.type	_Z9fp_bias_fPfS_,@function
_Z9fp_bias_fPfS_:                       ; @_Z9fp_bias_fPfS_
; %bb.0:
	s_load_dword s0, s[4:5], 0x1c
	s_load_dword s1, s[4:5], 0x10
	s_waitcnt lgkmcnt(0)
	s_and_b32 s0, s0, 0xffff
	s_mul_i32 s1, s1, s0
	s_abs_i32 s2, s1
	v_cvt_f32_u32_e32 v1, s2
	s_mul_i32 s6, s6, s0
	s_ashr_i32 s0, s1, 31
	s_sub_i32 s1, 0, s2
	v_rcp_iflag_f32_e32 v1, v1
	v_add_u32_e32 v0, s6, v0
	v_mul_lo_u32 v0, v0, 10
	v_mul_f32_e32 v1, 0x4f7ffffe, v1
	v_cvt_u32_f32_e32 v1, v1
	v_sub_u32_e32 v4, 0, v0
	v_ashrrev_i32_e32 v3, 31, v0
	v_add_u32_e32 v5, 10, v0
	v_mul_lo_u32 v2, s1, v1
	v_sub_u32_e32 v6, -10, v0
	v_max_i32_e32 v0, v0, v4
	v_max_i32_e32 v4, v5, v6
	v_mul_hi_u32 v2, v1, v2
	v_xor_b32_e32 v3, s0, v3
	v_ashrrev_i32_e32 v5, 31, v5
	v_xor_b32_e32 v5, s0, v5
	v_add_u32_e32 v1, v1, v2
	v_mul_hi_u32 v2, v0, v1
	v_mul_hi_u32 v1, v4, v1
	v_mul_lo_u32 v6, v2, s2
	v_mul_lo_u32 v7, v1, s2
	v_add_u32_e32 v8, 1, v2
	v_sub_u32_e32 v0, v0, v6
	v_cmp_le_u32_e32 vcc, s2, v0
	v_subrev_u32_e32 v6, s2, v0
	v_cndmask_b32_e32 v2, v2, v8, vcc
	v_cndmask_b32_e32 v0, v0, v6, vcc
	v_sub_u32_e32 v4, v4, v7
	v_add_u32_e32 v6, 1, v2
	v_cmp_le_u32_e32 vcc, s2, v0
	v_cndmask_b32_e32 v0, v2, v6, vcc
	v_add_u32_e32 v2, 1, v1
	v_cmp_le_u32_e32 vcc, s2, v4
	v_cndmask_b32_e32 v1, v1, v2, vcc
	v_subrev_u32_e32 v2, s2, v4
	v_xor_b32_e32 v0, v0, v3
	v_cndmask_b32_e32 v2, v4, v2, vcc
	v_sub_u32_e32 v0, v0, v3
	v_add_u32_e32 v3, 1, v1
	v_cmp_le_u32_e32 vcc, s2, v2
	v_cndmask_b32_e32 v1, v1, v3, vcc
	v_xor_b32_e32 v1, v1, v5
	v_sub_u32_e32 v5, v1, v5
	v_cmp_lt_i32_e32 vcc, v0, v5
	s_and_saveexec_b64 s[0:1], vcc
	s_cbranch_execz .LBB8_3
; %bb.1:
	s_load_dwordx4 s[0:3], s[4:5], 0x0
	v_ashrrev_i32_e32 v1, 31, v0
	v_lshlrev_b64 v[3:4], 2, v[0:1]
	s_waitcnt lgkmcnt(0)
	v_mov_b32_e32 v2, s3
	v_add_co_u32_e32 v1, vcc, s2, v3
	v_addc_co_u32_e32 v2, vcc, v2, v4, vcc
	v_mov_b32_e32 v6, s1
	v_add_co_u32_e32 v3, vcc, s0, v3
	v_addc_co_u32_e32 v4, vcc, v6, v4, vcc
	s_mov_b64 s[0:1], 0
.LBB8_2:                                ; =>This Inner Loop Header: Depth=1
	global_load_dword v6, v[1:2], off
	global_load_dword v7, v[3:4], off
	v_add_co_u32_e32 v1, vcc, 4, v1
	v_add_u32_e32 v0, 1, v0
	v_addc_co_u32_e32 v2, vcc, 0, v2, vcc
	v_cmp_ge_i32_e32 vcc, v0, v5
	s_or_b64 s[0:1], vcc, s[0:1]
	s_waitcnt vmcnt(0)
	v_add_f32_e32 v6, v6, v7
	global_store_dword v[3:4], v6, off
	v_add_co_u32_e32 v3, vcc, 4, v3
	v_addc_co_u32_e32 v4, vcc, 0, v4, vcc
	s_andn2_b64 exec, exec, s[0:1]
	s_cbranch_execnz .LBB8_2
.LBB8_3:
	s_endpgm
	.section	.rodata,"a",@progbits
	.p2align	6, 0x0
	.amdhsa_kernel _Z9fp_bias_fPfS_
		.amdhsa_group_segment_fixed_size 0
		.amdhsa_private_segment_fixed_size 0
		.amdhsa_kernarg_size 272
		.amdhsa_user_sgpr_count 6
		.amdhsa_user_sgpr_private_segment_buffer 1
		.amdhsa_user_sgpr_dispatch_ptr 0
		.amdhsa_user_sgpr_queue_ptr 0
		.amdhsa_user_sgpr_kernarg_segment_ptr 1
		.amdhsa_user_sgpr_dispatch_id 0
		.amdhsa_user_sgpr_flat_scratch_init 0
		.amdhsa_user_sgpr_private_segment_size 0
		.amdhsa_uses_dynamic_stack 0
		.amdhsa_system_sgpr_private_segment_wavefront_offset 0
		.amdhsa_system_sgpr_workgroup_id_x 1
		.amdhsa_system_sgpr_workgroup_id_y 0
		.amdhsa_system_sgpr_workgroup_id_z 0
		.amdhsa_system_sgpr_workgroup_info 0
		.amdhsa_system_vgpr_workitem_id 0
		.amdhsa_next_free_vgpr 9
		.amdhsa_next_free_sgpr 7
		.amdhsa_reserve_vcc 1
		.amdhsa_reserve_flat_scratch 0
		.amdhsa_float_round_mode_32 0
		.amdhsa_float_round_mode_16_64 0
		.amdhsa_float_denorm_mode_32 3
		.amdhsa_float_denorm_mode_16_64 3
		.amdhsa_dx10_clamp 1
		.amdhsa_ieee_mode 1
		.amdhsa_fp16_overflow 0
		.amdhsa_exception_fp_ieee_invalid_op 0
		.amdhsa_exception_fp_denorm_src 0
		.amdhsa_exception_fp_ieee_div_zero 0
		.amdhsa_exception_fp_ieee_overflow 0
		.amdhsa_exception_fp_ieee_underflow 0
		.amdhsa_exception_fp_ieee_inexact 0
		.amdhsa_exception_int_div_zero 0
	.end_amdhsa_kernel
	.text
.Lfunc_end8:
	.size	_Z9fp_bias_fPfS_, .Lfunc_end8-_Z9fp_bias_fPfS_
                                        ; -- End function
	.set _Z9fp_bias_fPfS_.num_vgpr, 9
	.set _Z9fp_bias_fPfS_.num_agpr, 0
	.set _Z9fp_bias_fPfS_.numbered_sgpr, 7
	.set _Z9fp_bias_fPfS_.num_named_barrier, 0
	.set _Z9fp_bias_fPfS_.private_seg_size, 0
	.set _Z9fp_bias_fPfS_.uses_vcc, 1
	.set _Z9fp_bias_fPfS_.uses_flat_scratch, 0
	.set _Z9fp_bias_fPfS_.has_dyn_sized_stack, 0
	.set _Z9fp_bias_fPfS_.has_recursion, 0
	.set _Z9fp_bias_fPfS_.has_indirect_call, 0
	.section	.AMDGPU.csdata,"",@progbits
; Kernel info:
; codeLenInByte = 392
; TotalNumSgprs: 11
; NumVgprs: 9
; ScratchSize: 0
; MemoryBound: 0
; FloatMode: 240
; IeeeMode: 1
; LDSByteSize: 0 bytes/workgroup (compile time only)
; SGPRBlocks: 1
; VGPRBlocks: 2
; NumSGPRsForWavesPerEU: 11
; NumVGPRsForWavesPerEU: 9
; Occupancy: 10
; WaveLimiterHint : 0
; COMPUTE_PGM_RSRC2:SCRATCH_EN: 0
; COMPUTE_PGM_RSRC2:USER_SGPR: 6
; COMPUTE_PGM_RSRC2:TRAP_HANDLER: 0
; COMPUTE_PGM_RSRC2:TGID_X_EN: 1
; COMPUTE_PGM_RSRC2:TGID_Y_EN: 0
; COMPUTE_PGM_RSRC2:TGID_Z_EN: 0
; COMPUTE_PGM_RSRC2:TIDIG_COMP_CNT: 0
	.text
	.protected	_Z11bp_weight_fPA6_A6_A6_fPfPS0_ ; -- Begin function _Z11bp_weight_fPA6_A6_A6_fPfPS0_
	.globl	_Z11bp_weight_fPA6_A6_A6_fPfPS0_
	.p2align	8
	.type	_Z11bp_weight_fPA6_A6_A6_fPfPS0_,@function
_Z11bp_weight_fPA6_A6_A6_fPfPS0_:       ; @_Z11bp_weight_fPA6_A6_A6_fPfPS0_
; %bb.0:
	s_load_dword s0, s[4:5], 0x24
	s_load_dword s1, s[4:5], 0x18
	s_movk_i32 s3, 0x870
	s_waitcnt lgkmcnt(0)
	s_and_b32 s0, s0, 0xffff
	s_mul_i32 s1, s1, s0
	s_abs_i32 s2, s1
	v_cvt_f32_u32_e32 v1, s2
	s_mul_i32 s6, s6, s0
	s_ashr_i32 s0, s1, 31
	s_sub_i32 s1, 0, s2
	v_rcp_iflag_f32_e32 v1, v1
	v_add_u32_e32 v0, s6, v0
	v_mul_lo_u32 v0, v0, s3
	v_mul_f32_e32 v1, 0x4f7ffffe, v1
	v_cvt_u32_f32_e32 v1, v1
	v_sub_u32_e32 v4, 0, v0
	v_ashrrev_i32_e32 v3, 31, v0
	v_add_u32_e32 v5, 0x870, v0
	v_mul_lo_u32 v2, s1, v1
	v_sub_u32_e32 v6, 0xfffff790, v0
	v_max_i32_e32 v0, v0, v4
	v_ashrrev_i32_e32 v4, 31, v5
	v_mul_hi_u32 v2, v1, v2
	v_max_i32_e32 v5, v5, v6
	v_xor_b32_e32 v3, s0, v3
	v_xor_b32_e32 v4, s0, v4
	v_add_u32_e32 v1, v1, v2
	v_mul_hi_u32 v2, v0, v1
	v_mul_hi_u32 v1, v5, v1
	v_mul_lo_u32 v6, v2, s2
	v_add_u32_e32 v7, 1, v2
	v_mul_lo_u32 v8, v1, s2
	v_sub_u32_e32 v0, v0, v6
	v_cmp_le_u32_e32 vcc, s2, v0
	v_subrev_u32_e32 v6, s2, v0
	v_cndmask_b32_e32 v2, v2, v7, vcc
	v_cndmask_b32_e32 v0, v0, v6, vcc
	v_add_u32_e32 v6, 1, v2
	v_cmp_le_u32_e32 vcc, s2, v0
	v_cndmask_b32_e32 v0, v2, v6, vcc
	v_xor_b32_e32 v0, v0, v3
	v_sub_u32_e32 v2, v5, v8
	v_sub_u32_e32 v0, v0, v3
	v_add_u32_e32 v3, 1, v1
	v_cmp_le_u32_e32 vcc, s2, v2
	v_cndmask_b32_e32 v1, v1, v3, vcc
	v_subrev_u32_e32 v3, s2, v2
	v_cndmask_b32_e32 v2, v2, v3, vcc
	v_add_u32_e32 v3, 1, v1
	v_cmp_le_u32_e32 vcc, s2, v2
	v_cndmask_b32_e32 v1, v1, v3, vcc
	v_xor_b32_e32 v1, v1, v4
	v_sub_u32_e32 v5, v1, v4
	v_cmp_lt_i32_e32 vcc, v0, v5
	s_and_saveexec_b64 s[0:1], vcc
	s_cbranch_execz .LBB9_3
; %bb.1:
	s_load_dwordx4 s[0:3], s[4:5], 0x0
	s_load_dwordx2 s[10:11], s[4:5], 0x10
	s_mov_b64 s[4:5], 0
	s_mov_b32 s6, 0x66666667
	s_mov_b32 s7, 0x2aaaaaab
	s_waitcnt lgkmcnt(0)
	v_mov_b32_e32 v4, s1
	v_mov_b32_e32 v1, s10
	s_mov_b32 s8, 0x88888889
	s_mov_b32 s9, 0xb60b60b7
	v_mov_b32_e32 v6, s3
	s_movk_i32 s3, 0x90
	v_mov_b32_e32 v2, s11
	s_movk_i32 s10, 0x360
	v_mov_b32_e32 v3, s0
.LBB9_2:                                ; =>This Inner Loop Header: Depth=1
	v_mul_hi_i32 v7, v0, s6
	v_mul_hi_i32 v8, v0, s8
	;; [unrolled: 1-line block ×3, first 2 shown]
	v_lshrrev_b32_e32 v10, 31, v7
	v_ashrrev_i32_e32 v7, 2, v7
	v_add_u32_e32 v8, v8, v0
	v_add_u32_e32 v9, v9, v0
	;; [unrolled: 1-line block ×3, first 2 shown]
	v_lshrrev_b32_e32 v11, 31, v8
	v_ashrrev_i32_e32 v12, 5, v8
	v_lshrrev_b32_e32 v13, 31, v9
	v_ashrrev_i32_e32 v9, 8, v9
	v_mul_hi_i32 v14, v10, s7
	v_add_u32_e32 v11, v12, v11
	v_add_u32_e32 v12, v9, v13
	v_mul_hi_i32 v13, v11, s7
	v_lshrrev_b32_e32 v9, 31, v14
	v_mul_hi_i32 v15, v12, s7
	v_add_u32_e32 v14, v14, v9
	v_lshrrev_b32_e32 v16, 31, v13
	v_mad_u64_u32 v[7:8], s[0:1], v10, -10, v[0:1]
	v_mul_lo_u32 v14, v14, 6
	v_add_u32_e32 v13, v13, v16
	v_mul_lo_u32 v13, v13, 6
	v_lshrrev_b32_e32 v17, 31, v15
	v_ashrrev_i32_e32 v8, 31, v7
	v_add_u32_e32 v15, v15, v17
	v_sub_u32_e32 v14, v10, v14
	v_lshlrev_b64 v[8:9], 2, v[7:8]
	v_mul_lo_u32 v15, v15, 6
	v_sub_u32_e32 v13, v11, v13
	v_mad_i64_i32 v[10:11], s[0:1], v14, s3, v[1:2]
	v_add_co_u32_e32 v8, vcc, s2, v8
	v_addc_co_u32_e32 v9, vcc, v6, v9, vcc
	global_load_dword v16, v[8:9], off
	v_sub_u32_e32 v8, v12, v15
	v_mad_i64_i32 v[10:11], s[0:1], v13, 24, v[10:11]
	v_ashrrev_i32_e32 v9, 31, v8
	v_lshlrev_b64 v[8:9], 2, v[8:9]
	v_add_u32_e32 v0, 1, v0
	v_add_co_u32_e32 v10, vcc, v10, v8
	v_addc_co_u32_e32 v11, vcc, v11, v9, vcc
	global_load_dword v12, v[10:11], off
	v_mad_i64_i32 v[10:11], s[0:1], v7, s10, v[3:4]
	v_cmp_ge_i32_e32 vcc, v0, v5
	s_or_b64 s[4:5], vcc, s[4:5]
	v_mad_i64_i32 v[10:11], s[0:1], v14, s3, v[10:11]
	v_mad_i64_i32 v[10:11], s[0:1], v13, 24, v[10:11]
	v_add_co_u32_e32 v7, vcc, v10, v8
	v_addc_co_u32_e32 v8, vcc, v11, v9, vcc
	s_waitcnt vmcnt(0)
	v_mul_f32_e32 v9, v16, v12
	global_store_dword v[7:8], v9, off
	s_andn2_b64 exec, exec, s[4:5]
	s_cbranch_execnz .LBB9_2
.LBB9_3:
	s_endpgm
	.section	.rodata,"a",@progbits
	.p2align	6, 0x0
	.amdhsa_kernel _Z11bp_weight_fPA6_A6_A6_fPfPS0_
		.amdhsa_group_segment_fixed_size 0
		.amdhsa_private_segment_fixed_size 0
		.amdhsa_kernarg_size 280
		.amdhsa_user_sgpr_count 6
		.amdhsa_user_sgpr_private_segment_buffer 1
		.amdhsa_user_sgpr_dispatch_ptr 0
		.amdhsa_user_sgpr_queue_ptr 0
		.amdhsa_user_sgpr_kernarg_segment_ptr 1
		.amdhsa_user_sgpr_dispatch_id 0
		.amdhsa_user_sgpr_flat_scratch_init 0
		.amdhsa_user_sgpr_private_segment_size 0
		.amdhsa_uses_dynamic_stack 0
		.amdhsa_system_sgpr_private_segment_wavefront_offset 0
		.amdhsa_system_sgpr_workgroup_id_x 1
		.amdhsa_system_sgpr_workgroup_id_y 0
		.amdhsa_system_sgpr_workgroup_id_z 0
		.amdhsa_system_sgpr_workgroup_info 0
		.amdhsa_system_vgpr_workitem_id 0
		.amdhsa_next_free_vgpr 18
		.amdhsa_next_free_sgpr 12
		.amdhsa_reserve_vcc 1
		.amdhsa_reserve_flat_scratch 0
		.amdhsa_float_round_mode_32 0
		.amdhsa_float_round_mode_16_64 0
		.amdhsa_float_denorm_mode_32 3
		.amdhsa_float_denorm_mode_16_64 3
		.amdhsa_dx10_clamp 1
		.amdhsa_ieee_mode 1
		.amdhsa_fp16_overflow 0
		.amdhsa_exception_fp_ieee_invalid_op 0
		.amdhsa_exception_fp_denorm_src 0
		.amdhsa_exception_fp_ieee_div_zero 0
		.amdhsa_exception_fp_ieee_overflow 0
		.amdhsa_exception_fp_ieee_underflow 0
		.amdhsa_exception_fp_ieee_inexact 0
		.amdhsa_exception_int_div_zero 0
	.end_amdhsa_kernel
	.text
.Lfunc_end9:
	.size	_Z11bp_weight_fPA6_A6_A6_fPfPS0_, .Lfunc_end9-_Z11bp_weight_fPA6_A6_A6_fPfPS0_
                                        ; -- End function
	.set _Z11bp_weight_fPA6_A6_A6_fPfPS0_.num_vgpr, 18
	.set _Z11bp_weight_fPA6_A6_A6_fPfPS0_.num_agpr, 0
	.set _Z11bp_weight_fPA6_A6_A6_fPfPS0_.numbered_sgpr, 12
	.set _Z11bp_weight_fPA6_A6_A6_fPfPS0_.num_named_barrier, 0
	.set _Z11bp_weight_fPA6_A6_A6_fPfPS0_.private_seg_size, 0
	.set _Z11bp_weight_fPA6_A6_A6_fPfPS0_.uses_vcc, 1
	.set _Z11bp_weight_fPA6_A6_A6_fPfPS0_.uses_flat_scratch, 0
	.set _Z11bp_weight_fPA6_A6_A6_fPfPS0_.has_dyn_sized_stack, 0
	.set _Z11bp_weight_fPA6_A6_A6_fPfPS0_.has_recursion, 0
	.set _Z11bp_weight_fPA6_A6_A6_fPfPS0_.has_indirect_call, 0
	.section	.AMDGPU.csdata,"",@progbits
; Kernel info:
; codeLenInByte = 668
; TotalNumSgprs: 16
; NumVgprs: 18
; ScratchSize: 0
; MemoryBound: 0
; FloatMode: 240
; IeeeMode: 1
; LDSByteSize: 0 bytes/workgroup (compile time only)
; SGPRBlocks: 1
; VGPRBlocks: 4
; NumSGPRsForWavesPerEU: 16
; NumVGPRsForWavesPerEU: 18
; Occupancy: 10
; WaveLimiterHint : 0
; COMPUTE_PGM_RSRC2:SCRATCH_EN: 0
; COMPUTE_PGM_RSRC2:USER_SGPR: 6
; COMPUTE_PGM_RSRC2:TRAP_HANDLER: 0
; COMPUTE_PGM_RSRC2:TGID_X_EN: 1
; COMPUTE_PGM_RSRC2:TGID_Y_EN: 0
; COMPUTE_PGM_RSRC2:TGID_Z_EN: 0
; COMPUTE_PGM_RSRC2:TIDIG_COMP_CNT: 0
	.text
	.protected	_Z9bp_bias_fPfS_        ; -- Begin function _Z9bp_bias_fPfS_
	.globl	_Z9bp_bias_fPfS_
	.p2align	8
	.type	_Z9bp_bias_fPfS_,@function
_Z9bp_bias_fPfS_:                       ; @_Z9bp_bias_fPfS_
; %bb.0:
	s_load_dword s0, s[4:5], 0x1c
	s_load_dword s1, s[4:5], 0x10
	s_waitcnt lgkmcnt(0)
	s_and_b32 s0, s0, 0xffff
	s_mul_i32 s1, s1, s0
	s_abs_i32 s2, s1
	v_cvt_f32_u32_e32 v1, s2
	s_mul_i32 s6, s6, s0
	s_ashr_i32 s0, s1, 31
	s_sub_i32 s1, 0, s2
	v_rcp_iflag_f32_e32 v1, v1
	v_add_u32_e32 v0, s6, v0
	v_mul_lo_u32 v0, v0, 10
	v_mul_f32_e32 v1, 0x4f7ffffe, v1
	v_cvt_u32_f32_e32 v1, v1
	v_sub_u32_e32 v4, 0, v0
	v_ashrrev_i32_e32 v3, 31, v0
	v_add_u32_e32 v5, 10, v0
	v_mul_lo_u32 v2, s1, v1
	v_sub_u32_e32 v6, -10, v0
	v_max_i32_e32 v0, v0, v4
	v_max_i32_e32 v4, v5, v6
	v_mul_hi_u32 v2, v1, v2
	v_xor_b32_e32 v3, s0, v3
	v_ashrrev_i32_e32 v5, 31, v5
	v_xor_b32_e32 v5, s0, v5
	v_add_u32_e32 v1, v1, v2
	v_mul_hi_u32 v2, v0, v1
	v_mul_hi_u32 v1, v4, v1
	v_mul_lo_u32 v6, v2, s2
	v_mul_lo_u32 v7, v1, s2
	v_add_u32_e32 v8, 1, v2
	v_sub_u32_e32 v0, v0, v6
	v_cmp_le_u32_e32 vcc, s2, v0
	v_subrev_u32_e32 v6, s2, v0
	v_cndmask_b32_e32 v2, v2, v8, vcc
	v_cndmask_b32_e32 v0, v0, v6, vcc
	v_sub_u32_e32 v4, v4, v7
	v_add_u32_e32 v6, 1, v2
	v_cmp_le_u32_e32 vcc, s2, v0
	v_cndmask_b32_e32 v0, v2, v6, vcc
	v_add_u32_e32 v2, 1, v1
	v_cmp_le_u32_e32 vcc, s2, v4
	v_cndmask_b32_e32 v1, v1, v2, vcc
	v_subrev_u32_e32 v2, s2, v4
	v_xor_b32_e32 v0, v0, v3
	v_cndmask_b32_e32 v2, v4, v2, vcc
	v_sub_u32_e32 v0, v0, v3
	v_add_u32_e32 v3, 1, v1
	v_cmp_le_u32_e32 vcc, s2, v2
	v_cndmask_b32_e32 v1, v1, v3, vcc
	v_xor_b32_e32 v1, v1, v5
	v_sub_u32_e32 v5, v1, v5
	v_cmp_lt_i32_e32 vcc, v0, v5
	s_and_saveexec_b64 s[0:1], vcc
	s_cbranch_execz .LBB10_3
; %bb.1:
	s_load_dwordx4 s[0:3], s[4:5], 0x0
	v_ashrrev_i32_e32 v1, 31, v0
	v_lshlrev_b64 v[3:4], 2, v[0:1]
	s_waitcnt lgkmcnt(0)
	v_mov_b32_e32 v2, s3
	v_add_co_u32_e32 v1, vcc, s2, v3
	v_addc_co_u32_e32 v2, vcc, v2, v4, vcc
	v_mov_b32_e32 v6, s1
	v_add_co_u32_e32 v3, vcc, s0, v3
	v_addc_co_u32_e32 v4, vcc, v6, v4, vcc
	s_mov_b64 s[0:1], 0
.LBB10_2:                               ; =>This Inner Loop Header: Depth=1
	global_load_dword v6, v[1:2], off
	global_load_dword v7, v[3:4], off
	v_add_co_u32_e32 v1, vcc, 4, v1
	v_add_u32_e32 v0, 1, v0
	v_addc_co_u32_e32 v2, vcc, 0, v2, vcc
	v_cmp_ge_i32_e32 vcc, v0, v5
	s_or_b64 s[0:1], vcc, s[0:1]
	s_waitcnt vmcnt(0)
	v_fmac_f32_e32 v7, 0x3dcccccd, v6
	global_store_dword v[3:4], v7, off
	v_add_co_u32_e32 v3, vcc, 4, v3
	v_addc_co_u32_e32 v4, vcc, 0, v4, vcc
	s_andn2_b64 exec, exec, s[0:1]
	s_cbranch_execnz .LBB10_2
.LBB10_3:
	s_endpgm
	.section	.rodata,"a",@progbits
	.p2align	6, 0x0
	.amdhsa_kernel _Z9bp_bias_fPfS_
		.amdhsa_group_segment_fixed_size 0
		.amdhsa_private_segment_fixed_size 0
		.amdhsa_kernarg_size 272
		.amdhsa_user_sgpr_count 6
		.amdhsa_user_sgpr_private_segment_buffer 1
		.amdhsa_user_sgpr_dispatch_ptr 0
		.amdhsa_user_sgpr_queue_ptr 0
		.amdhsa_user_sgpr_kernarg_segment_ptr 1
		.amdhsa_user_sgpr_dispatch_id 0
		.amdhsa_user_sgpr_flat_scratch_init 0
		.amdhsa_user_sgpr_private_segment_size 0
		.amdhsa_uses_dynamic_stack 0
		.amdhsa_system_sgpr_private_segment_wavefront_offset 0
		.amdhsa_system_sgpr_workgroup_id_x 1
		.amdhsa_system_sgpr_workgroup_id_y 0
		.amdhsa_system_sgpr_workgroup_id_z 0
		.amdhsa_system_sgpr_workgroup_info 0
		.amdhsa_system_vgpr_workitem_id 0
		.amdhsa_next_free_vgpr 9
		.amdhsa_next_free_sgpr 7
		.amdhsa_reserve_vcc 1
		.amdhsa_reserve_flat_scratch 0
		.amdhsa_float_round_mode_32 0
		.amdhsa_float_round_mode_16_64 0
		.amdhsa_float_denorm_mode_32 3
		.amdhsa_float_denorm_mode_16_64 3
		.amdhsa_dx10_clamp 1
		.amdhsa_ieee_mode 1
		.amdhsa_fp16_overflow 0
		.amdhsa_exception_fp_ieee_invalid_op 0
		.amdhsa_exception_fp_denorm_src 0
		.amdhsa_exception_fp_ieee_div_zero 0
		.amdhsa_exception_fp_ieee_overflow 0
		.amdhsa_exception_fp_ieee_underflow 0
		.amdhsa_exception_fp_ieee_inexact 0
		.amdhsa_exception_int_div_zero 0
	.end_amdhsa_kernel
	.text
.Lfunc_end10:
	.size	_Z9bp_bias_fPfS_, .Lfunc_end10-_Z9bp_bias_fPfS_
                                        ; -- End function
	.set _Z9bp_bias_fPfS_.num_vgpr, 9
	.set _Z9bp_bias_fPfS_.num_agpr, 0
	.set _Z9bp_bias_fPfS_.numbered_sgpr, 7
	.set _Z9bp_bias_fPfS_.num_named_barrier, 0
	.set _Z9bp_bias_fPfS_.private_seg_size, 0
	.set _Z9bp_bias_fPfS_.uses_vcc, 1
	.set _Z9bp_bias_fPfS_.uses_flat_scratch, 0
	.set _Z9bp_bias_fPfS_.has_dyn_sized_stack, 0
	.set _Z9bp_bias_fPfS_.has_recursion, 0
	.set _Z9bp_bias_fPfS_.has_indirect_call, 0
	.section	.AMDGPU.csdata,"",@progbits
; Kernel info:
; codeLenInByte = 396
; TotalNumSgprs: 11
; NumVgprs: 9
; ScratchSize: 0
; MemoryBound: 0
; FloatMode: 240
; IeeeMode: 1
; LDSByteSize: 0 bytes/workgroup (compile time only)
; SGPRBlocks: 1
; VGPRBlocks: 2
; NumSGPRsForWavesPerEU: 11
; NumVGPRsForWavesPerEU: 9
; Occupancy: 10
; WaveLimiterHint : 0
; COMPUTE_PGM_RSRC2:SCRATCH_EN: 0
; COMPUTE_PGM_RSRC2:USER_SGPR: 6
; COMPUTE_PGM_RSRC2:TRAP_HANDLER: 0
; COMPUTE_PGM_RSRC2:TGID_X_EN: 1
; COMPUTE_PGM_RSRC2:TGID_Y_EN: 0
; COMPUTE_PGM_RSRC2:TGID_Z_EN: 0
; COMPUTE_PGM_RSRC2:TIDIG_COMP_CNT: 0
	.text
	.protected	_Z12bp_output_s1PA6_A6_fPA6_S0_Pf ; -- Begin function _Z12bp_output_s1PA6_A6_fPA6_S0_Pf
	.globl	_Z12bp_output_s1PA6_A6_fPA6_S0_Pf
	.p2align	8
	.type	_Z12bp_output_s1PA6_A6_fPA6_S0_Pf,@function
_Z12bp_output_s1PA6_A6_fPA6_S0_Pf:      ; @_Z12bp_output_s1PA6_A6_fPA6_S0_Pf
; %bb.0:
	s_load_dword s0, s[4:5], 0x24
	s_load_dword s1, s[4:5], 0x18
	s_movk_i32 s3, 0x870
	s_waitcnt lgkmcnt(0)
	s_and_b32 s0, s0, 0xffff
	s_mul_i32 s1, s1, s0
	s_abs_i32 s2, s1
	v_cvt_f32_u32_e32 v1, s2
	s_mul_i32 s6, s6, s0
	s_ashr_i32 s0, s1, 31
	s_sub_i32 s1, 0, s2
	v_rcp_iflag_f32_e32 v1, v1
	v_add_u32_e32 v0, s6, v0
	v_mul_lo_u32 v0, v0, s3
	v_mul_f32_e32 v1, 0x4f7ffffe, v1
	v_cvt_u32_f32_e32 v1, v1
	v_sub_u32_e32 v4, 0, v0
	v_ashrrev_i32_e32 v3, 31, v0
	v_add_u32_e32 v5, 0x870, v0
	v_mul_lo_u32 v2, s1, v1
	v_sub_u32_e32 v6, 0xfffff790, v0
	v_max_i32_e32 v0, v0, v4
	v_ashrrev_i32_e32 v4, 31, v5
	v_mul_hi_u32 v2, v1, v2
	v_max_i32_e32 v5, v5, v6
	v_xor_b32_e32 v3, s0, v3
	v_xor_b32_e32 v4, s0, v4
	v_add_u32_e32 v1, v1, v2
	v_mul_hi_u32 v2, v0, v1
	v_mul_hi_u32 v1, v5, v1
	v_mul_lo_u32 v6, v2, s2
	v_add_u32_e32 v7, 1, v2
	v_mul_lo_u32 v9, v1, s2
	v_sub_u32_e32 v0, v0, v6
	v_cmp_le_u32_e32 vcc, s2, v0
	v_subrev_u32_e32 v6, s2, v0
	v_cndmask_b32_e32 v2, v2, v7, vcc
	v_cndmask_b32_e32 v0, v0, v6, vcc
	v_add_u32_e32 v6, 1, v2
	v_cmp_le_u32_e32 vcc, s2, v0
	v_cndmask_b32_e32 v0, v2, v6, vcc
	v_xor_b32_e32 v0, v0, v3
	v_sub_u32_e32 v8, v0, v3
	v_sub_u32_e32 v0, v5, v9
	v_add_u32_e32 v2, 1, v1
	v_cmp_le_u32_e32 vcc, s2, v0
	v_cndmask_b32_e32 v1, v1, v2, vcc
	v_subrev_u32_e32 v2, s2, v0
	v_cndmask_b32_e32 v0, v0, v2, vcc
	v_add_u32_e32 v2, 1, v1
	v_cmp_le_u32_e32 vcc, s2, v0
	v_cndmask_b32_e32 v0, v1, v2, vcc
	v_xor_b32_e32 v0, v0, v4
	v_sub_u32_e32 v9, v0, v4
	v_cmp_lt_i32_e32 vcc, v8, v9
	s_and_saveexec_b64 s[0:1], vcc
	s_cbranch_execz .LBB11_5
; %bb.1:
	s_load_dwordx4 s[12:15], s[4:5], 0x0
	s_load_dwordx2 s[0:1], s[4:5], 0x10
	s_mov_b64 s[2:3], 0
	s_mov_b32 s6, 0x66666667
	s_mov_b32 s7, 0x2aaaaaab
	s_waitcnt lgkmcnt(0)
	v_mov_b32_e32 v0, s12
	v_mov_b32_e32 v2, s14
	s_mov_b32 s8, 0x88888889
	s_mov_b32 s9, 0xb60b60b7
	s_movk_i32 s10, 0x90
	v_mov_b32_e32 v1, s13
	s_movk_i32 s11, 0x360
	v_mov_b32_e32 v3, s15
	v_mov_b32_e32 v10, s1
.LBB11_2:                               ; =>This Loop Header: Depth=1
                                        ;     Child Loop BB11_3 Depth 2
	v_mul_hi_i32 v4, v8, s6
	v_mul_hi_i32 v5, v8, s8
	;; [unrolled: 1-line block ×3, first 2 shown]
	v_lshrrev_b32_e32 v7, 31, v4
	v_ashrrev_i32_e32 v4, 2, v4
	v_add_u32_e32 v7, v4, v7
	v_mul_hi_i32 v4, v7, s7
	v_add_u32_e32 v5, v5, v8
	v_lshrrev_b32_e32 v11, 31, v5
	v_add_u32_e32 v6, v6, v8
	v_lshrrev_b32_e32 v13, 31, v4
	v_add_u32_e32 v4, v4, v13
	v_mul_lo_u32 v13, v4, 6
	v_ashrrev_i32_e32 v4, 5, v5
	v_add_u32_e32 v5, v4, v11
	v_mul_hi_i32 v4, v5, s7
	v_lshrrev_b32_e32 v11, 31, v6
	v_ashrrev_i32_e32 v6, 8, v6
	v_add_u32_e32 v6, v6, v11
	v_mul_hi_i32 v11, v6, s7
	v_lshrrev_b32_e32 v14, 31, v4
	v_add_u32_e32 v4, v4, v14
	v_mul_lo_u32 v14, v4, 6
	v_lshrrev_b32_e32 v4, 31, v11
	v_mul_lo_u32 v12, v7, 10
	v_add_u32_e32 v4, v11, v4
	v_mul_lo_u32 v11, v4, 6
	v_sub_u32_e32 v13, v7, v13
	v_sub_u32_e32 v4, v8, v12
	v_sub_u32_e32 v15, v5, v14
	v_sub_u32_e32 v5, v6, v11
	v_mad_i64_i32 v[6:7], s[4:5], v4, s11, v[2:3]
	v_mad_i64_i32 v[11:12], s[4:5], v13, s10, v[0:1]
	;; [unrolled: 1-line block ×3, first 2 shown]
	v_ashrrev_i32_e32 v6, 31, v5
	v_lshlrev_b64 v[6:7], 2, v[5:6]
	v_mad_i64_i32 v[13:14], s[4:5], v15, 24, v[13:14]
	v_ashrrev_i32_e32 v5, 31, v4
	v_mad_i64_i32 v[11:12], s[4:5], v15, 24, v[11:12]
	v_add_co_u32_e32 v13, vcc, v13, v6
	v_lshlrev_b64 v[4:5], 2, v[4:5]
	v_addc_co_u32_e32 v14, vcc, v14, v7, vcc
	v_add_co_u32_e32 v4, vcc, s0, v4
	v_addc_co_u32_e32 v5, vcc, v10, v5, vcc
	global_load_dword v13, v[13:14], off
	s_mov_b64 s[4:5], 0
	global_load_dword v14, v[4:5], off
	v_add_co_u32_e32 v4, vcc, v11, v6
	v_addc_co_u32_e32 v5, vcc, v12, v7, vcc
	global_load_dword v7, v[4:5], off
	s_waitcnt vmcnt(1)
	v_mul_f32_e32 v11, v13, v14
.LBB11_3:                               ;   Parent Loop BB11_2 Depth=1
                                        ; =>  This Inner Loop Header: Depth=2
	s_waitcnt vmcnt(0)
	v_add_f32_e32 v6, v7, v11
	global_atomic_cmpswap v6, v[4:5], v[6:7], off glc
	s_waitcnt vmcnt(0)
	v_cmp_eq_u32_e32 vcc, v6, v7
	s_or_b64 s[4:5], vcc, s[4:5]
	v_mov_b32_e32 v7, v6
	s_andn2_b64 exec, exec, s[4:5]
	s_cbranch_execnz .LBB11_3
; %bb.4:                                ;   in Loop: Header=BB11_2 Depth=1
	s_or_b64 exec, exec, s[4:5]
	v_add_u32_e32 v8, 1, v8
	v_cmp_ge_i32_e32 vcc, v8, v9
	s_or_b64 s[2:3], vcc, s[2:3]
	s_andn2_b64 exec, exec, s[2:3]
	s_cbranch_execnz .LBB11_2
.LBB11_5:
	s_endpgm
	.section	.rodata,"a",@progbits
	.p2align	6, 0x0
	.amdhsa_kernel _Z12bp_output_s1PA6_A6_fPA6_S0_Pf
		.amdhsa_group_segment_fixed_size 0
		.amdhsa_private_segment_fixed_size 0
		.amdhsa_kernarg_size 280
		.amdhsa_user_sgpr_count 6
		.amdhsa_user_sgpr_private_segment_buffer 1
		.amdhsa_user_sgpr_dispatch_ptr 0
		.amdhsa_user_sgpr_queue_ptr 0
		.amdhsa_user_sgpr_kernarg_segment_ptr 1
		.amdhsa_user_sgpr_dispatch_id 0
		.amdhsa_user_sgpr_flat_scratch_init 0
		.amdhsa_user_sgpr_private_segment_size 0
		.amdhsa_uses_dynamic_stack 0
		.amdhsa_system_sgpr_private_segment_wavefront_offset 0
		.amdhsa_system_sgpr_workgroup_id_x 1
		.amdhsa_system_sgpr_workgroup_id_y 0
		.amdhsa_system_sgpr_workgroup_id_z 0
		.amdhsa_system_sgpr_workgroup_info 0
		.amdhsa_system_vgpr_workitem_id 0
		.amdhsa_next_free_vgpr 16
		.amdhsa_next_free_sgpr 16
		.amdhsa_reserve_vcc 1
		.amdhsa_reserve_flat_scratch 0
		.amdhsa_float_round_mode_32 0
		.amdhsa_float_round_mode_16_64 0
		.amdhsa_float_denorm_mode_32 3
		.amdhsa_float_denorm_mode_16_64 3
		.amdhsa_dx10_clamp 1
		.amdhsa_ieee_mode 1
		.amdhsa_fp16_overflow 0
		.amdhsa_exception_fp_ieee_invalid_op 0
		.amdhsa_exception_fp_denorm_src 0
		.amdhsa_exception_fp_ieee_div_zero 0
		.amdhsa_exception_fp_ieee_overflow 0
		.amdhsa_exception_fp_ieee_underflow 0
		.amdhsa_exception_fp_ieee_inexact 0
		.amdhsa_exception_int_div_zero 0
	.end_amdhsa_kernel
	.text
.Lfunc_end11:
	.size	_Z12bp_output_s1PA6_A6_fPA6_S0_Pf, .Lfunc_end11-_Z12bp_output_s1PA6_A6_fPA6_S0_Pf
                                        ; -- End function
	.set _Z12bp_output_s1PA6_A6_fPA6_S0_Pf.num_vgpr, 16
	.set _Z12bp_output_s1PA6_A6_fPA6_S0_Pf.num_agpr, 0
	.set _Z12bp_output_s1PA6_A6_fPA6_S0_Pf.numbered_sgpr, 16
	.set _Z12bp_output_s1PA6_A6_fPA6_S0_Pf.num_named_barrier, 0
	.set _Z12bp_output_s1PA6_A6_fPA6_S0_Pf.private_seg_size, 0
	.set _Z12bp_output_s1PA6_A6_fPA6_S0_Pf.uses_vcc, 1
	.set _Z12bp_output_s1PA6_A6_fPA6_S0_Pf.uses_flat_scratch, 0
	.set _Z12bp_output_s1PA6_A6_fPA6_S0_Pf.has_dyn_sized_stack, 0
	.set _Z12bp_output_s1PA6_A6_fPA6_S0_Pf.has_recursion, 0
	.set _Z12bp_output_s1PA6_A6_fPA6_S0_Pf.has_indirect_call, 0
	.section	.AMDGPU.csdata,"",@progbits
; Kernel info:
; codeLenInByte = 720
; TotalNumSgprs: 20
; NumVgprs: 16
; ScratchSize: 0
; MemoryBound: 0
; FloatMode: 240
; IeeeMode: 1
; LDSByteSize: 0 bytes/workgroup (compile time only)
; SGPRBlocks: 2
; VGPRBlocks: 3
; NumSGPRsForWavesPerEU: 20
; NumVGPRsForWavesPerEU: 16
; Occupancy: 10
; WaveLimiterHint : 0
; COMPUTE_PGM_RSRC2:SCRATCH_EN: 0
; COMPUTE_PGM_RSRC2:USER_SGPR: 6
; COMPUTE_PGM_RSRC2:TRAP_HANDLER: 0
; COMPUTE_PGM_RSRC2:TGID_X_EN: 1
; COMPUTE_PGM_RSRC2:TGID_Y_EN: 0
; COMPUTE_PGM_RSRC2:TGID_Z_EN: 0
; COMPUTE_PGM_RSRC2:TIDIG_COMP_CNT: 0
	.text
	.protected	_Z12bp_preact_s1PA6_A6_fS1_S1_ ; -- Begin function _Z12bp_preact_s1PA6_A6_fS1_S1_
	.globl	_Z12bp_preact_s1PA6_A6_fS1_S1_
	.p2align	8
	.type	_Z12bp_preact_s1PA6_A6_fS1_S1_,@function
_Z12bp_preact_s1PA6_A6_fS1_S1_:         ; @_Z12bp_preact_s1PA6_A6_fS1_S1_
; %bb.0:
	s_load_dword s0, s[4:5], 0x24
	s_load_dword s1, s[4:5], 0x18
	s_movk_i32 s3, 0xd8
	s_waitcnt lgkmcnt(0)
	s_and_b32 s0, s0, 0xffff
	s_mul_i32 s1, s1, s0
	s_abs_i32 s2, s1
	v_cvt_f32_u32_e32 v1, s2
	s_mul_i32 s6, s6, s0
	s_ashr_i32 s0, s1, 31
	s_sub_i32 s1, 0, s2
	v_rcp_iflag_f32_e32 v1, v1
	v_add_u32_e32 v0, s6, v0
	v_mul_lo_u32 v0, v0, s3
	v_mul_f32_e32 v1, 0x4f7ffffe, v1
	v_cvt_u32_f32_e32 v1, v1
	v_sub_u32_e32 v4, 0, v0
	v_ashrrev_i32_e32 v3, 31, v0
	v_add_u32_e32 v5, 0xd8, v0
	v_mul_lo_u32 v2, s1, v1
	v_sub_u32_e32 v6, 0xffffff28, v0
	v_max_i32_e32 v0, v0, v4
	v_ashrrev_i32_e32 v4, 31, v5
	v_mul_hi_u32 v2, v1, v2
	v_max_i32_e32 v5, v5, v6
	v_xor_b32_e32 v3, s0, v3
	v_xor_b32_e32 v4, s0, v4
	v_add_u32_e32 v1, v1, v2
	v_mul_hi_u32 v2, v0, v1
	v_mul_hi_u32 v1, v5, v1
	v_mul_lo_u32 v6, v2, s2
	v_add_u32_e32 v7, 1, v2
	v_mul_lo_u32 v8, v1, s2
	v_sub_u32_e32 v0, v0, v6
	v_cmp_le_u32_e32 vcc, s2, v0
	v_subrev_u32_e32 v6, s2, v0
	v_cndmask_b32_e32 v2, v2, v7, vcc
	v_cndmask_b32_e32 v0, v0, v6, vcc
	v_add_u32_e32 v6, 1, v2
	v_cmp_le_u32_e32 vcc, s2, v0
	v_cndmask_b32_e32 v0, v2, v6, vcc
	v_xor_b32_e32 v0, v0, v3
	v_sub_u32_e32 v2, v5, v8
	v_sub_u32_e32 v0, v0, v3
	v_add_u32_e32 v3, 1, v1
	v_cmp_le_u32_e32 vcc, s2, v2
	v_cndmask_b32_e32 v1, v1, v3, vcc
	v_subrev_u32_e32 v3, s2, v2
	v_cndmask_b32_e32 v2, v2, v3, vcc
	v_add_u32_e32 v3, 1, v1
	v_cmp_le_u32_e32 vcc, s2, v2
	v_cndmask_b32_e32 v1, v1, v3, vcc
	v_xor_b32_e32 v1, v1, v4
	v_sub_u32_e32 v1, v1, v4
	v_cmp_lt_i32_e32 vcc, v0, v1
	s_and_saveexec_b64 s[0:1], vcc
	s_cbranch_execz .LBB12_3
; %bb.1:
	s_load_dwordx4 s[0:3], s[4:5], 0x0
	s_load_dwordx2 s[6:7], s[4:5], 0x10
	s_mov_b64 s[4:5], 0
	s_mov_b32 s8, 0x2aaaaaab
	s_mov_b32 s9, 0x38e38e39
	s_movk_i32 s10, 0x90
	s_waitcnt lgkmcnt(0)
	v_mov_b32_e32 v2, s7
	s_mov_b32 s7, 0xbfb8aa3b
	s_mov_b32 s11, 0x42ce8ed0
	;; [unrolled: 1-line block ×3, first 2 shown]
	v_mov_b32_e32 v3, 0x7f800000
	v_mov_b32_e32 v4, s3
	;; [unrolled: 1-line block ×3, first 2 shown]
.LBB12_2:                               ; =>This Inner Loop Header: Depth=1
	v_mul_hi_i32 v6, v0, s8
	v_mul_hi_i32 v7, v0, s9
	v_lshrrev_b32_e32 v8, 31, v6
	v_lshrrev_b32_e32 v9, 31, v7
	v_ashrrev_i32_e32 v7, 3, v7
	v_add_u32_e32 v8, v6, v8
	v_add_u32_e32 v9, v7, v9
	v_mul_hi_i32 v10, v8, s8
	v_mul_hi_i32 v11, v9, s8
	v_mad_u64_u32 v[6:7], s[14:15], v8, -6, v[0:1]
	v_lshrrev_b32_e32 v12, 31, v10
	v_lshrrev_b32_e32 v13, 31, v11
	v_add_u32_e32 v10, v10, v12
	v_add_u32_e32 v11, v11, v13
	v_mul_lo_u32 v10, v10, 6
	v_mul_lo_u32 v11, v11, 6
	v_mad_i64_i32 v[6:7], s[14:15], v6, s10, 0
	v_sub_u32_e32 v10, v8, v10
	v_sub_u32_e32 v8, v9, v11
	v_mad_i64_i32 v[10:11], s[14:15], v10, 24, 0
	v_add_co_u32_e32 v12, vcc, s6, v6
	v_addc_co_u32_e32 v13, vcc, v2, v7, vcc
	v_ashrrev_i32_e32 v9, 31, v8
	v_lshlrev_b64 v[8:9], 2, v[8:9]
	v_add_co_u32_e32 v12, vcc, v12, v10
	v_addc_co_u32_e32 v13, vcc, v13, v11, vcc
	v_add_co_u32_e32 v12, vcc, v12, v8
	v_addc_co_u32_e32 v13, vcc, v13, v9, vcc
	global_load_dword v14, v[12:13], off
	v_add_co_u32_e32 v12, vcc, s2, v6
	v_addc_co_u32_e32 v13, vcc, v4, v7, vcc
	v_add_co_u32_e32 v12, vcc, v12, v10
	v_addc_co_u32_e32 v13, vcc, v13, v11, vcc
	v_add_co_u32_e32 v12, vcc, v12, v8
	v_addc_co_u32_e32 v13, vcc, v13, v9, vcc
	global_load_dword v12, v[12:13], off
	v_add_u32_e32 v0, 1, v0
	s_waitcnt vmcnt(1)
	v_mul_f32_e32 v13, 0xbfb8aa3b, v14
	v_fma_f32 v15, v14, s7, -v13
	v_rndne_f32_e32 v16, v13
	v_fmac_f32_e32 v15, 0xb2a5705f, v14
	v_sub_f32_e32 v13, v13, v16
	v_add_f32_e32 v13, v13, v15
	v_cvt_i32_f32_e32 v16, v16
	v_exp_f32_e32 v13, v13
	v_cmp_nlt_f32_e32 vcc, s11, v14
	v_ldexp_f32 v13, v13, v16
	v_cndmask_b32_e32 v13, 0, v13, vcc
	v_cmp_ngt_f32_e32 vcc, s12, v14
	v_cndmask_b32_e32 v13, v3, v13, vcc
	v_add_f32_e32 v13, 1.0, v13
	v_div_scale_f32 v14, s[14:15], v13, v13, 1.0
	v_div_scale_f32 v15, vcc, 1.0, v13, 1.0
	v_rcp_f32_e32 v16, v14
	v_fma_f32 v17, -v14, v16, 1.0
	v_fmac_f32_e32 v16, v17, v16
	v_mul_f32_e32 v17, v15, v16
	v_fma_f32 v18, -v14, v17, v15
	v_fmac_f32_e32 v17, v18, v16
	v_fma_f32 v14, -v14, v17, v15
	v_div_fmas_f32 v14, v14, v16, v17
	v_cmp_ge_i32_e32 vcc, v0, v1
	s_or_b64 s[4:5], vcc, s[4:5]
	v_add_co_u32_e32 v6, vcc, s0, v6
	v_addc_co_u32_e32 v7, vcc, v5, v7, vcc
	v_add_co_u32_e32 v6, vcc, v6, v10
	v_addc_co_u32_e32 v7, vcc, v7, v11, vcc
	;; [unrolled: 2-line block ×3, first 2 shown]
	v_div_fixup_f32 v8, v14, v13, 1.0
	s_waitcnt vmcnt(0)
	v_mul_f32_e32 v9, v12, v8
	v_sub_f32_e32 v8, 1.0, v8
	v_mul_f32_e32 v8, v9, v8
	global_store_dword v[6:7], v8, off
	s_andn2_b64 exec, exec, s[4:5]
	s_cbranch_execnz .LBB12_2
.LBB12_3:
	s_endpgm
	.section	.rodata,"a",@progbits
	.p2align	6, 0x0
	.amdhsa_kernel _Z12bp_preact_s1PA6_A6_fS1_S1_
		.amdhsa_group_segment_fixed_size 0
		.amdhsa_private_segment_fixed_size 0
		.amdhsa_kernarg_size 280
		.amdhsa_user_sgpr_count 6
		.amdhsa_user_sgpr_private_segment_buffer 1
		.amdhsa_user_sgpr_dispatch_ptr 0
		.amdhsa_user_sgpr_queue_ptr 0
		.amdhsa_user_sgpr_kernarg_segment_ptr 1
		.amdhsa_user_sgpr_dispatch_id 0
		.amdhsa_user_sgpr_flat_scratch_init 0
		.amdhsa_user_sgpr_private_segment_size 0
		.amdhsa_uses_dynamic_stack 0
		.amdhsa_system_sgpr_private_segment_wavefront_offset 0
		.amdhsa_system_sgpr_workgroup_id_x 1
		.amdhsa_system_sgpr_workgroup_id_y 0
		.amdhsa_system_sgpr_workgroup_id_z 0
		.amdhsa_system_sgpr_workgroup_info 0
		.amdhsa_system_vgpr_workitem_id 0
		.amdhsa_next_free_vgpr 19
		.amdhsa_next_free_sgpr 16
		.amdhsa_reserve_vcc 1
		.amdhsa_reserve_flat_scratch 0
		.amdhsa_float_round_mode_32 0
		.amdhsa_float_round_mode_16_64 0
		.amdhsa_float_denorm_mode_32 3
		.amdhsa_float_denorm_mode_16_64 3
		.amdhsa_dx10_clamp 1
		.amdhsa_ieee_mode 1
		.amdhsa_fp16_overflow 0
		.amdhsa_exception_fp_ieee_invalid_op 0
		.amdhsa_exception_fp_denorm_src 0
		.amdhsa_exception_fp_ieee_div_zero 0
		.amdhsa_exception_fp_ieee_overflow 0
		.amdhsa_exception_fp_ieee_underflow 0
		.amdhsa_exception_fp_ieee_inexact 0
		.amdhsa_exception_int_div_zero 0
	.end_amdhsa_kernel
	.text
.Lfunc_end12:
	.size	_Z12bp_preact_s1PA6_A6_fS1_S1_, .Lfunc_end12-_Z12bp_preact_s1PA6_A6_fS1_S1_
                                        ; -- End function
	.set _Z12bp_preact_s1PA6_A6_fS1_S1_.num_vgpr, 19
	.set _Z12bp_preact_s1PA6_A6_fS1_S1_.num_agpr, 0
	.set _Z12bp_preact_s1PA6_A6_fS1_S1_.numbered_sgpr, 16
	.set _Z12bp_preact_s1PA6_A6_fS1_S1_.num_named_barrier, 0
	.set _Z12bp_preact_s1PA6_A6_fS1_S1_.private_seg_size, 0
	.set _Z12bp_preact_s1PA6_A6_fS1_S1_.uses_vcc, 1
	.set _Z12bp_preact_s1PA6_A6_fS1_S1_.uses_flat_scratch, 0
	.set _Z12bp_preact_s1PA6_A6_fS1_S1_.has_dyn_sized_stack, 0
	.set _Z12bp_preact_s1PA6_A6_fS1_S1_.has_recursion, 0
	.set _Z12bp_preact_s1PA6_A6_fS1_S1_.has_indirect_call, 0
	.section	.AMDGPU.csdata,"",@progbits
; Kernel info:
; codeLenInByte = 780
; TotalNumSgprs: 20
; NumVgprs: 19
; ScratchSize: 0
; MemoryBound: 0
; FloatMode: 240
; IeeeMode: 1
; LDSByteSize: 0 bytes/workgroup (compile time only)
; SGPRBlocks: 2
; VGPRBlocks: 4
; NumSGPRsForWavesPerEU: 20
; NumVGPRsForWavesPerEU: 19
; Occupancy: 10
; WaveLimiterHint : 0
; COMPUTE_PGM_RSRC2:SCRATCH_EN: 0
; COMPUTE_PGM_RSRC2:USER_SGPR: 6
; COMPUTE_PGM_RSRC2:TRAP_HANDLER: 0
; COMPUTE_PGM_RSRC2:TGID_X_EN: 1
; COMPUTE_PGM_RSRC2:TGID_Y_EN: 0
; COMPUTE_PGM_RSRC2:TGID_Z_EN: 0
; COMPUTE_PGM_RSRC2:TIDIG_COMP_CNT: 0
	.text
	.protected	_Z12bp_weight_s1PA4_A4_fPA6_A6_fPA24_A24_f ; -- Begin function _Z12bp_weight_s1PA4_A4_fPA6_A6_fPA24_A24_f
	.globl	_Z12bp_weight_s1PA4_A4_fPA6_A6_fPA24_A24_f
	.p2align	8
	.type	_Z12bp_weight_s1PA4_A4_fPA6_A6_fPA24_A24_f,@function
_Z12bp_weight_s1PA4_A4_fPA6_A6_fPA24_A24_f: ; @_Z12bp_weight_s1PA4_A4_fPA6_A6_fPA24_A24_f
; %bb.0:
	s_load_dword s0, s[4:5], 0x24
	s_load_dword s1, s[4:5], 0x18
	s_movk_i32 s3, 0xd80
	s_waitcnt lgkmcnt(0)
	s_and_b32 s0, s0, 0xffff
	s_mul_i32 s1, s1, s0
	s_abs_i32 s2, s1
	v_cvt_f32_u32_e32 v1, s2
	s_mul_i32 s6, s6, s0
	s_ashr_i32 s0, s1, 31
	s_sub_i32 s1, 0, s2
	v_rcp_iflag_f32_e32 v1, v1
	v_add_u32_e32 v0, s6, v0
	v_mul_lo_u32 v0, v0, s3
	v_mul_f32_e32 v1, 0x4f7ffffe, v1
	v_cvt_u32_f32_e32 v1, v1
	v_sub_u32_e32 v4, 0, v0
	v_ashrrev_i32_e32 v3, 31, v0
	v_add_u32_e32 v5, 0xd80, v0
	v_mul_lo_u32 v2, s1, v1
	v_sub_u32_e32 v6, 0xfffff280, v0
	v_max_i32_e32 v0, v0, v4
	v_ashrrev_i32_e32 v4, 31, v5
	v_mul_hi_u32 v2, v1, v2
	v_max_i32_e32 v5, v5, v6
	v_xor_b32_e32 v3, s0, v3
	v_xor_b32_e32 v4, s0, v4
	v_add_u32_e32 v1, v1, v2
	v_mul_hi_u32 v2, v0, v1
	v_mul_hi_u32 v1, v5, v1
	v_mul_lo_u32 v6, v2, s2
	v_add_u32_e32 v7, 1, v2
	v_mul_lo_u32 v9, v1, s2
	v_sub_u32_e32 v0, v0, v6
	v_cmp_le_u32_e32 vcc, s2, v0
	v_subrev_u32_e32 v6, s2, v0
	v_cndmask_b32_e32 v2, v2, v7, vcc
	v_cndmask_b32_e32 v0, v0, v6, vcc
	v_add_u32_e32 v6, 1, v2
	v_cmp_le_u32_e32 vcc, s2, v0
	v_cndmask_b32_e32 v0, v2, v6, vcc
	v_xor_b32_e32 v0, v0, v3
	v_sub_u32_e32 v8, v0, v3
	v_sub_u32_e32 v0, v5, v9
	v_add_u32_e32 v2, 1, v1
	v_cmp_le_u32_e32 vcc, s2, v0
	v_cndmask_b32_e32 v1, v1, v2, vcc
	v_subrev_u32_e32 v2, s2, v0
	v_cndmask_b32_e32 v0, v0, v2, vcc
	v_add_u32_e32 v2, 1, v1
	v_cmp_le_u32_e32 vcc, s2, v0
	v_cndmask_b32_e32 v0, v1, v2, vcc
	v_xor_b32_e32 v0, v0, v4
	v_sub_u32_e32 v9, v0, v4
	v_cmp_lt_i32_e32 vcc, v8, v9
	s_and_saveexec_b64 s[0:1], vcc
	s_cbranch_execz .LBB13_5
; %bb.1:
	s_load_dwordx4 s[0:3], s[4:5], 0x0
	s_load_dwordx2 s[10:11], s[4:5], 0x10
	s_mov_b64 s[4:5], 0
	s_mov_b32 s6, 0x2aaaaaab
	s_mov_b32 s7, 0x38e38e39
	s_waitcnt lgkmcnt(0)
	v_mov_b32_e32 v0, s2
	v_mov_b32_e32 v2, s10
	;; [unrolled: 1-line block ×3, first 2 shown]
	s_movk_i32 s1, 0x90
	v_mov_b32_e32 v1, s3
	s_movk_i32 s8, 0x900
	v_mov_b32_e32 v3, s11
	s_movk_i32 s9, 0x60
.LBB13_2:                               ; =>This Loop Header: Depth=1
                                        ;     Child Loop BB13_3 Depth 2
	v_ashrrev_i32_e32 v4, 31, v8
	v_lshrrev_b32_e32 v5, 30, v4
	v_lshrrev_b32_e32 v4, 28, v4
	v_add_u32_e32 v4, v8, v4
	v_ashrrev_i32_e32 v7, 4, v4
	v_mul_hi_i32 v11, v7, s6
	v_add_u32_e32 v5, v8, v5
	v_ashrrev_i32_e32 v6, 2, v5
	v_and_b32_e32 v5, -4, v5
	v_lshrrev_b32_e32 v12, 31, v11
	v_add_u32_e32 v11, v11, v12
	v_mul_lo_u32 v11, v11, 6
	v_mul_hi_i32 v12, v8, s6
	v_sub_u32_e32 v4, v8, v5
	v_lshrrev_b32_e32 v5, 30, v6
	v_add_u32_e32 v5, v6, v5
	v_and_b32_e32 v5, -4, v5
	v_sub_u32_e32 v6, v6, v5
	v_sub_u32_e32 v16, v7, v11
	v_lshrrev_b32_e32 v5, 31, v12
	v_mul_hi_i32 v7, v8, s7
	v_ashrrev_i32_e32 v11, 4, v12
	v_add_u32_e32 v5, v11, v5
	v_mul_hi_i32 v11, v5, s6
	v_lshrrev_b32_e32 v12, 31, v7
	v_ashrrev_i32_e32 v7, 7, v7
	v_add_u32_e32 v7, v7, v12
	v_mul_hi_i32 v12, v7, s6
	v_lshrrev_b32_e32 v13, 31, v11
	v_add_u32_e32 v11, v11, v13
	v_mul_lo_u32 v11, v11, 6
	v_lshrrev_b32_e32 v13, 31, v12
	v_add_u32_e32 v12, v12, v13
	v_mul_lo_u32 v13, v12, 6
	v_sub_u32_e32 v17, v5, v11
	v_mad_i64_i32 v[11:12], s[2:3], v16, s1, v[0:1]
	v_sub_u32_e32 v13, v7, v13
	v_ashrrev_i32_e32 v14, 31, v13
	v_mad_i64_i32 v[11:12], s[2:3], v17, 24, v[11:12]
	v_lshlrev_b64 v[14:15], 2, v[13:14]
	v_ashrrev_i32_e32 v5, 31, v4
	v_add_co_u32_e32 v11, vcc, v11, v14
	v_addc_co_u32_e32 v12, vcc, v12, v15, vcc
	global_load_dword v20, v[11:12], off
	v_mad_i64_i32 v[11:12], s[2:3], v16, s8, v[2:3]
	v_lshlrev_b64 v[14:15], 4, v[4:5]
	v_ashrrev_i32_e32 v7, 31, v6
	v_add_co_u32_e32 v18, vcc, s0, v14
	v_lshl_add_u32 v4, v17, 2, v4
	v_addc_co_u32_e32 v19, vcc, v10, v15, vcc
	v_lshlrev_b64 v[14:15], 2, v[6:7]
	v_mad_i64_i32 v[4:5], s[2:3], v4, s9, v[11:12]
	v_lshl_add_u32 v6, v13, 2, v6
	v_ashrrev_i32_e32 v7, 31, v6
	v_lshlrev_b64 v[6:7], 2, v[6:7]
	s_mov_b64 s[2:3], 0
	v_add_co_u32_e32 v4, vcc, v4, v6
	v_addc_co_u32_e32 v5, vcc, v5, v7, vcc
	global_load_dword v6, v[4:5], off
	v_add_co_u32_e32 v4, vcc, v18, v14
	v_addc_co_u32_e32 v5, vcc, v19, v15, vcc
	global_load_dword v7, v[4:5], off
	s_waitcnt vmcnt(1)
	v_mul_f32_e32 v11, v20, v6
.LBB13_3:                               ;   Parent Loop BB13_2 Depth=1
                                        ; =>  This Inner Loop Header: Depth=2
	s_waitcnt vmcnt(0)
	v_add_f32_e32 v6, v7, v11
	global_atomic_cmpswap v6, v[4:5], v[6:7], off glc
	s_waitcnt vmcnt(0)
	v_cmp_eq_u32_e32 vcc, v6, v7
	s_or_b64 s[2:3], vcc, s[2:3]
	v_mov_b32_e32 v7, v6
	s_andn2_b64 exec, exec, s[2:3]
	s_cbranch_execnz .LBB13_3
; %bb.4:                                ;   in Loop: Header=BB13_2 Depth=1
	s_or_b64 exec, exec, s[2:3]
	v_add_u32_e32 v8, 1, v8
	v_cmp_ge_i32_e32 vcc, v8, v9
	s_or_b64 s[4:5], vcc, s[4:5]
	s_andn2_b64 exec, exec, s[4:5]
	s_cbranch_execnz .LBB13_2
.LBB13_5:
	s_endpgm
	.section	.rodata,"a",@progbits
	.p2align	6, 0x0
	.amdhsa_kernel _Z12bp_weight_s1PA4_A4_fPA6_A6_fPA24_A24_f
		.amdhsa_group_segment_fixed_size 0
		.amdhsa_private_segment_fixed_size 0
		.amdhsa_kernarg_size 280
		.amdhsa_user_sgpr_count 6
		.amdhsa_user_sgpr_private_segment_buffer 1
		.amdhsa_user_sgpr_dispatch_ptr 0
		.amdhsa_user_sgpr_queue_ptr 0
		.amdhsa_user_sgpr_kernarg_segment_ptr 1
		.amdhsa_user_sgpr_dispatch_id 0
		.amdhsa_user_sgpr_flat_scratch_init 0
		.amdhsa_user_sgpr_private_segment_size 0
		.amdhsa_uses_dynamic_stack 0
		.amdhsa_system_sgpr_private_segment_wavefront_offset 0
		.amdhsa_system_sgpr_workgroup_id_x 1
		.amdhsa_system_sgpr_workgroup_id_y 0
		.amdhsa_system_sgpr_workgroup_id_z 0
		.amdhsa_system_sgpr_workgroup_info 0
		.amdhsa_system_vgpr_workitem_id 0
		.amdhsa_next_free_vgpr 21
		.amdhsa_next_free_sgpr 12
		.amdhsa_reserve_vcc 1
		.amdhsa_reserve_flat_scratch 0
		.amdhsa_float_round_mode_32 0
		.amdhsa_float_round_mode_16_64 0
		.amdhsa_float_denorm_mode_32 3
		.amdhsa_float_denorm_mode_16_64 3
		.amdhsa_dx10_clamp 1
		.amdhsa_ieee_mode 1
		.amdhsa_fp16_overflow 0
		.amdhsa_exception_fp_ieee_invalid_op 0
		.amdhsa_exception_fp_denorm_src 0
		.amdhsa_exception_fp_ieee_div_zero 0
		.amdhsa_exception_fp_ieee_overflow 0
		.amdhsa_exception_fp_ieee_underflow 0
		.amdhsa_exception_fp_ieee_inexact 0
		.amdhsa_exception_int_div_zero 0
	.end_amdhsa_kernel
	.text
.Lfunc_end13:
	.size	_Z12bp_weight_s1PA4_A4_fPA6_A6_fPA24_A24_f, .Lfunc_end13-_Z12bp_weight_s1PA4_A4_fPA6_A6_fPA24_A24_f
                                        ; -- End function
	.set _Z12bp_weight_s1PA4_A4_fPA6_A6_fPA24_A24_f.num_vgpr, 21
	.set _Z12bp_weight_s1PA4_A4_fPA6_A6_fPA24_A24_f.num_agpr, 0
	.set _Z12bp_weight_s1PA4_A4_fPA6_A6_fPA24_A24_f.numbered_sgpr, 12
	.set _Z12bp_weight_s1PA4_A4_fPA6_A6_fPA24_A24_f.num_named_barrier, 0
	.set _Z12bp_weight_s1PA4_A4_fPA6_A6_fPA24_A24_f.private_seg_size, 0
	.set _Z12bp_weight_s1PA4_A4_fPA6_A6_fPA24_A24_f.uses_vcc, 1
	.set _Z12bp_weight_s1PA4_A4_fPA6_A6_fPA24_A24_f.uses_flat_scratch, 0
	.set _Z12bp_weight_s1PA4_A4_fPA6_A6_fPA24_A24_f.has_dyn_sized_stack, 0
	.set _Z12bp_weight_s1PA4_A4_fPA6_A6_fPA24_A24_f.has_recursion, 0
	.set _Z12bp_weight_s1PA4_A4_fPA6_A6_fPA24_A24_f.has_indirect_call, 0
	.section	.AMDGPU.csdata,"",@progbits
; Kernel info:
; codeLenInByte = 760
; TotalNumSgprs: 16
; NumVgprs: 21
; ScratchSize: 0
; MemoryBound: 0
; FloatMode: 240
; IeeeMode: 1
; LDSByteSize: 0 bytes/workgroup (compile time only)
; SGPRBlocks: 1
; VGPRBlocks: 5
; NumSGPRsForWavesPerEU: 16
; NumVGPRsForWavesPerEU: 21
; Occupancy: 10
; WaveLimiterHint : 0
; COMPUTE_PGM_RSRC2:SCRATCH_EN: 0
; COMPUTE_PGM_RSRC2:USER_SGPR: 6
; COMPUTE_PGM_RSRC2:TRAP_HANDLER: 0
; COMPUTE_PGM_RSRC2:TGID_X_EN: 1
; COMPUTE_PGM_RSRC2:TGID_Y_EN: 0
; COMPUTE_PGM_RSRC2:TGID_Z_EN: 0
; COMPUTE_PGM_RSRC2:TIDIG_COMP_CNT: 0
	.text
	.protected	_Z10bp_bias_s1PfPA6_A6_f ; -- Begin function _Z10bp_bias_s1PfPA6_A6_f
	.globl	_Z10bp_bias_s1PfPA6_A6_f
	.p2align	8
	.type	_Z10bp_bias_s1PfPA6_A6_f,@function
_Z10bp_bias_s1PfPA6_A6_f:               ; @_Z10bp_bias_s1PfPA6_A6_f
; %bb.0:
	s_load_dword s0, s[4:5], 0x1c
	s_load_dword s1, s[4:5], 0x10
	s_movk_i32 s3, 0xd8
	s_waitcnt lgkmcnt(0)
	s_and_b32 s0, s0, 0xffff
	s_mul_i32 s1, s1, s0
	s_abs_i32 s2, s1
	v_cvt_f32_u32_e32 v1, s2
	s_mul_i32 s6, s6, s0
	s_ashr_i32 s0, s1, 31
	s_sub_i32 s1, 0, s2
	v_rcp_iflag_f32_e32 v1, v1
	v_add_u32_e32 v0, s6, v0
	v_mul_lo_u32 v0, v0, s3
	v_mul_f32_e32 v1, 0x4f7ffffe, v1
	v_cvt_u32_f32_e32 v1, v1
	v_sub_u32_e32 v4, 0, v0
	v_ashrrev_i32_e32 v3, 31, v0
	v_add_u32_e32 v5, 0xd8, v0
	v_mul_lo_u32 v2, s1, v1
	v_sub_u32_e32 v6, 0xffffff28, v0
	v_max_i32_e32 v0, v0, v4
	v_ashrrev_i32_e32 v4, 31, v5
	v_mul_hi_u32 v2, v1, v2
	v_max_i32_e32 v5, v5, v6
	v_xor_b32_e32 v7, s0, v4
	v_xor_b32_e32 v3, s0, v3
	v_add_u32_e32 v1, v1, v2
	v_mul_hi_u32 v2, v0, v1
	v_mul_hi_u32 v1, v5, v1
	v_mul_lo_u32 v6, v2, s2
	v_add_u32_e32 v4, 1, v2
	v_mul_lo_u32 v8, v1, s2
	v_sub_u32_e32 v0, v0, v6
	v_cmp_le_u32_e32 vcc, s2, v0
	v_cndmask_b32_e32 v2, v2, v4, vcc
	v_subrev_u32_e32 v4, s2, v0
	v_cndmask_b32_e32 v0, v0, v4, vcc
	v_add_u32_e32 v4, 1, v2
	v_cmp_le_u32_e32 vcc, s2, v0
	v_cndmask_b32_e32 v0, v2, v4, vcc
	v_xor_b32_e32 v0, v0, v3
	v_sub_u32_e32 v4, v0, v3
	v_sub_u32_e32 v0, v5, v8
	v_add_u32_e32 v2, 1, v1
	v_cmp_le_u32_e32 vcc, s2, v0
	v_cndmask_b32_e32 v1, v1, v2, vcc
	v_subrev_u32_e32 v2, s2, v0
	v_cndmask_b32_e32 v0, v0, v2, vcc
	v_add_u32_e32 v2, 1, v1
	v_cmp_le_u32_e32 vcc, s2, v0
	v_cndmask_b32_e32 v0, v1, v2, vcc
	v_xor_b32_e32 v0, v0, v7
	v_sub_u32_e32 v5, v0, v7
	v_cmp_lt_i32_e32 vcc, v4, v5
	s_and_saveexec_b64 s[0:1], vcc
	s_cbranch_execz .LBB14_9
; %bb.1:
	s_load_dwordx4 s[0:3], s[4:5], 0x0
	s_mov_b64 s[4:5], 0
	s_mov_b32 s8, 0x2aaaaaab
	s_mov_b32 s9, 0x38e38e39
	s_movk_i32 s10, 0x90
	s_waitcnt lgkmcnt(0)
	v_mov_b32_e32 v0, s2
	v_mov_b32_e32 v1, s3
	s_mov_b32 s11, 0x43580000
	v_mov_b32_e32 v6, 0
	s_branch .LBB14_3
.LBB14_2:                               ;   in Loop: Header=BB14_3 Depth=1
	s_or_b64 exec, exec, s[2:3]
	v_add_u32_e32 v4, 1, v4
	v_cmp_ge_i32_e32 vcc, v4, v5
	s_or_b64 s[4:5], vcc, s[4:5]
	s_andn2_b64 exec, exec, s[4:5]
	s_cbranch_execz .LBB14_9
.LBB14_3:                               ; =>This Loop Header: Depth=1
                                        ;     Child Loop BB14_4 Depth 2
                                        ;     Child Loop BB14_7 Depth 2
	v_mul_hi_i32 v2, v4, s8
	v_mul_hi_i32 v3, v4, s9
	s_mov_b64 s[2:3], exec
	v_lshrrev_b32_e32 v7, 31, v2
	v_lshrrev_b32_e32 v8, 31, v3
	v_add_u32_e32 v7, v2, v7
	v_ashrrev_i32_e32 v3, 3, v3
	v_mul_hi_i32 v9, v7, s8
	v_add_u32_e32 v8, v3, v8
	v_mul_hi_i32 v3, v8, s8
	v_mul_lo_u32 v2, v7, 6
	v_lshrrev_b32_e32 v10, 31, v9
	v_add_u32_e32 v9, v9, v10
	v_lshrrev_b32_e32 v10, 31, v3
	v_sub_u32_e32 v2, v4, v2
	v_mul_lo_u32 v9, v9, 6
	v_add_u32_e32 v3, v3, v10
	v_mul_lo_u32 v10, v3, 6
	v_mad_i64_i32 v[2:3], s[6:7], v2, s10, v[0:1]
	v_sub_u32_e32 v9, v7, v9
	v_sub_u32_e32 v7, v8, v10
	v_mad_i64_i32 v[2:3], s[6:7], v9, 24, v[2:3]
	v_ashrrev_i32_e32 v8, 31, v7
	v_lshlrev_b64 v[7:8], 2, v[7:8]
	v_add_co_u32_e32 v2, vcc, v2, v7
	v_addc_co_u32_e32 v3, vcc, v3, v8, vcc
	global_load_dword v2, v[2:3], off
	s_waitcnt vmcnt(0)
	v_mul_f32_e32 v2, 0x3dcccccd, v2
	v_div_scale_f32 v3, s[6:7], s11, s11, v2
	v_div_scale_f32 v7, vcc, v2, s11, v2
	v_rcp_f32_e32 v8, v3
	v_fma_f32 v9, -v3, v8, 1.0
	v_fmac_f32_e32 v8, v9, v8
	v_mul_f32_e32 v9, v7, v8
	v_fma_f32 v10, -v3, v9, v7
	v_fmac_f32_e32 v9, v10, v8
	v_fma_f32 v3, -v3, v9, v7
	v_div_fmas_f32 v3, v3, v8, v9
	v_bfrev_b32_e32 v7, 1
	v_div_fixup_f32 v2, v3, s11, v2
.LBB14_4:                               ;   Parent Loop BB14_3 Depth=1
                                        ; =>  This Inner Loop Header: Depth=2
	s_ff1_i32_b64 s6, s[2:3]
	v_readlane_b32 s12, v2, s6
	s_lshl_b64 s[6:7], 1, s6
	s_andn2_b64 s[2:3], s[2:3], s[6:7]
	s_cmp_lg_u64 s[2:3], 0
	v_add_f32_e32 v7, s12, v7
	s_cbranch_scc1 .LBB14_4
; %bb.5:                                ;   in Loop: Header=BB14_3 Depth=1
	v_mbcnt_lo_u32_b32 v2, exec_lo, 0
	v_mbcnt_hi_u32_b32 v2, exec_hi, v2
	v_cmp_eq_u32_e32 vcc, 0, v2
	s_and_saveexec_b64 s[2:3], vcc
	s_xor_b64 s[2:3], exec, s[2:3]
	s_cbranch_execz .LBB14_2
; %bb.6:                                ;   in Loop: Header=BB14_3 Depth=1
	global_load_dword v3, v6, s[0:1]
	s_mov_b64 s[6:7], 0
.LBB14_7:                               ;   Parent Loop BB14_3 Depth=1
                                        ; =>  This Inner Loop Header: Depth=2
	s_waitcnt vmcnt(0)
	v_add_f32_e32 v2, v3, v7
	global_atomic_cmpswap v2, v6, v[2:3], s[0:1] glc
	s_waitcnt vmcnt(0)
	v_cmp_eq_u32_e32 vcc, v2, v3
	s_or_b64 s[6:7], vcc, s[6:7]
	v_mov_b32_e32 v3, v2
	s_andn2_b64 exec, exec, s[6:7]
	s_cbranch_execnz .LBB14_7
; %bb.8:                                ;   in Loop: Header=BB14_3 Depth=1
	s_or_b64 exec, exec, s[6:7]
	s_branch .LBB14_2
.LBB14_9:
	s_endpgm
	.section	.rodata,"a",@progbits
	.p2align	6, 0x0
	.amdhsa_kernel _Z10bp_bias_s1PfPA6_A6_f
		.amdhsa_group_segment_fixed_size 0
		.amdhsa_private_segment_fixed_size 0
		.amdhsa_kernarg_size 272
		.amdhsa_user_sgpr_count 6
		.amdhsa_user_sgpr_private_segment_buffer 1
		.amdhsa_user_sgpr_dispatch_ptr 0
		.amdhsa_user_sgpr_queue_ptr 0
		.amdhsa_user_sgpr_kernarg_segment_ptr 1
		.amdhsa_user_sgpr_dispatch_id 0
		.amdhsa_user_sgpr_flat_scratch_init 0
		.amdhsa_user_sgpr_private_segment_size 0
		.amdhsa_uses_dynamic_stack 0
		.amdhsa_system_sgpr_private_segment_wavefront_offset 0
		.amdhsa_system_sgpr_workgroup_id_x 1
		.amdhsa_system_sgpr_workgroup_id_y 0
		.amdhsa_system_sgpr_workgroup_id_z 0
		.amdhsa_system_sgpr_workgroup_info 0
		.amdhsa_system_vgpr_workitem_id 0
		.amdhsa_next_free_vgpr 11
		.amdhsa_next_free_sgpr 13
		.amdhsa_reserve_vcc 1
		.amdhsa_reserve_flat_scratch 0
		.amdhsa_float_round_mode_32 0
		.amdhsa_float_round_mode_16_64 0
		.amdhsa_float_denorm_mode_32 3
		.amdhsa_float_denorm_mode_16_64 3
		.amdhsa_dx10_clamp 1
		.amdhsa_ieee_mode 1
		.amdhsa_fp16_overflow 0
		.amdhsa_exception_fp_ieee_invalid_op 0
		.amdhsa_exception_fp_denorm_src 0
		.amdhsa_exception_fp_ieee_div_zero 0
		.amdhsa_exception_fp_ieee_overflow 0
		.amdhsa_exception_fp_ieee_underflow 0
		.amdhsa_exception_fp_ieee_inexact 0
		.amdhsa_exception_int_div_zero 0
	.end_amdhsa_kernel
	.text
.Lfunc_end14:
	.size	_Z10bp_bias_s1PfPA6_A6_f, .Lfunc_end14-_Z10bp_bias_s1PfPA6_A6_f
                                        ; -- End function
	.set _Z10bp_bias_s1PfPA6_A6_f.num_vgpr, 11
	.set _Z10bp_bias_s1PfPA6_A6_f.num_agpr, 0
	.set _Z10bp_bias_s1PfPA6_A6_f.numbered_sgpr, 13
	.set _Z10bp_bias_s1PfPA6_A6_f.num_named_barrier, 0
	.set _Z10bp_bias_s1PfPA6_A6_f.private_seg_size, 0
	.set _Z10bp_bias_s1PfPA6_A6_f.uses_vcc, 1
	.set _Z10bp_bias_s1PfPA6_A6_f.uses_flat_scratch, 0
	.set _Z10bp_bias_s1PfPA6_A6_f.has_dyn_sized_stack, 0
	.set _Z10bp_bias_s1PfPA6_A6_f.has_recursion, 0
	.set _Z10bp_bias_s1PfPA6_A6_f.has_indirect_call, 0
	.section	.AMDGPU.csdata,"",@progbits
; Kernel info:
; codeLenInByte = 732
; TotalNumSgprs: 17
; NumVgprs: 11
; ScratchSize: 0
; MemoryBound: 0
; FloatMode: 240
; IeeeMode: 1
; LDSByteSize: 0 bytes/workgroup (compile time only)
; SGPRBlocks: 2
; VGPRBlocks: 2
; NumSGPRsForWavesPerEU: 17
; NumVGPRsForWavesPerEU: 11
; Occupancy: 10
; WaveLimiterHint : 0
; COMPUTE_PGM_RSRC2:SCRATCH_EN: 0
; COMPUTE_PGM_RSRC2:USER_SGPR: 6
; COMPUTE_PGM_RSRC2:TRAP_HANDLER: 0
; COMPUTE_PGM_RSRC2:TGID_X_EN: 1
; COMPUTE_PGM_RSRC2:TGID_Y_EN: 0
; COMPUTE_PGM_RSRC2:TGID_Z_EN: 0
; COMPUTE_PGM_RSRC2:TIDIG_COMP_CNT: 0
	.text
	.protected	_Z12bp_output_c1PA24_A24_fPA4_A4_fPA6_A6_f ; -- Begin function _Z12bp_output_c1PA24_A24_fPA4_A4_fPA6_A6_f
	.globl	_Z12bp_output_c1PA24_A24_fPA4_A4_fPA6_A6_f
	.p2align	8
	.type	_Z12bp_output_c1PA24_A24_fPA4_A4_fPA6_A6_f,@function
_Z12bp_output_c1PA24_A24_fPA4_A4_fPA6_A6_f: ; @_Z12bp_output_c1PA24_A24_fPA4_A4_fPA6_A6_f
; %bb.0:
	s_load_dword s0, s[4:5], 0x24
	s_load_dword s1, s[4:5], 0x18
	s_movk_i32 s3, 0xd80
	s_waitcnt lgkmcnt(0)
	s_and_b32 s0, s0, 0xffff
	s_mul_i32 s1, s1, s0
	s_abs_i32 s2, s1
	v_cvt_f32_u32_e32 v1, s2
	s_mul_i32 s6, s6, s0
	s_ashr_i32 s0, s1, 31
	s_sub_i32 s1, 0, s2
	v_rcp_iflag_f32_e32 v1, v1
	v_add_u32_e32 v0, s6, v0
	v_mul_lo_u32 v0, v0, s3
	v_mul_f32_e32 v1, 0x4f7ffffe, v1
	v_cvt_u32_f32_e32 v1, v1
	v_sub_u32_e32 v4, 0, v0
	v_ashrrev_i32_e32 v3, 31, v0
	v_add_u32_e32 v5, 0xd80, v0
	v_mul_lo_u32 v2, s1, v1
	v_sub_u32_e32 v6, 0xfffff280, v0
	v_max_i32_e32 v0, v0, v4
	v_ashrrev_i32_e32 v4, 31, v5
	v_mul_hi_u32 v2, v1, v2
	v_max_i32_e32 v5, v5, v6
	v_xor_b32_e32 v3, s0, v3
	v_xor_b32_e32 v4, s0, v4
	v_add_u32_e32 v1, v1, v2
	v_mul_hi_u32 v2, v0, v1
	v_mul_hi_u32 v1, v5, v1
	v_mul_lo_u32 v6, v2, s2
	v_add_u32_e32 v7, 1, v2
	v_mul_lo_u32 v9, v1, s2
	v_sub_u32_e32 v0, v0, v6
	v_cmp_le_u32_e32 vcc, s2, v0
	v_subrev_u32_e32 v6, s2, v0
	v_cndmask_b32_e32 v2, v2, v7, vcc
	v_cndmask_b32_e32 v0, v0, v6, vcc
	v_add_u32_e32 v6, 1, v2
	v_cmp_le_u32_e32 vcc, s2, v0
	v_cndmask_b32_e32 v0, v2, v6, vcc
	v_xor_b32_e32 v0, v0, v3
	v_sub_u32_e32 v8, v0, v3
	v_sub_u32_e32 v0, v5, v9
	v_add_u32_e32 v2, 1, v1
	v_cmp_le_u32_e32 vcc, s2, v0
	v_cndmask_b32_e32 v1, v1, v2, vcc
	v_subrev_u32_e32 v2, s2, v0
	v_cndmask_b32_e32 v0, v0, v2, vcc
	v_add_u32_e32 v2, 1, v1
	v_cmp_le_u32_e32 vcc, s2, v0
	v_cndmask_b32_e32 v0, v1, v2, vcc
	v_xor_b32_e32 v0, v0, v4
	v_sub_u32_e32 v9, v0, v4
	v_cmp_lt_i32_e32 vcc, v8, v9
	s_and_saveexec_b64 s[0:1], vcc
	s_cbranch_execz .LBB15_5
; %bb.1:
	s_load_dwordx4 s[0:3], s[4:5], 0x0
	s_load_dwordx2 s[10:11], s[4:5], 0x10
	s_mov_b64 s[4:5], 0
	s_mov_b32 s6, 0x2aaaaaab
	s_mov_b32 s7, 0x38e38e39
	s_waitcnt lgkmcnt(0)
	v_mov_b32_e32 v0, s0
	v_mov_b32_e32 v2, s10
	s_movk_i32 s8, 0x900
	v_mov_b32_e32 v1, s1
	s_movk_i32 s9, 0x60
	;; [unrolled: 2-line block ×3, first 2 shown]
	v_mov_b32_e32 v3, s11
.LBB15_2:                               ; =>This Loop Header: Depth=1
                                        ;     Child Loop BB15_3 Depth 2
	v_ashrrev_i32_e32 v4, 31, v8
	v_lshrrev_b32_e32 v5, 30, v4
	v_lshrrev_b32_e32 v4, 28, v4
	v_add_u32_e32 v4, v8, v4
	v_ashrrev_i32_e32 v7, 4, v4
	v_mul_hi_i32 v11, v7, s6
	v_add_u32_e32 v5, v8, v5
	v_ashrrev_i32_e32 v6, 2, v5
	v_and_b32_e32 v5, -4, v5
	v_lshrrev_b32_e32 v12, 31, v11
	v_add_u32_e32 v11, v11, v12
	v_mul_lo_u32 v11, v11, 6
	v_mul_hi_i32 v12, v8, s6
	v_sub_u32_e32 v4, v8, v5
	v_lshrrev_b32_e32 v5, 30, v6
	v_add_u32_e32 v5, v6, v5
	v_and_b32_e32 v5, -4, v5
	v_sub_u32_e32 v6, v6, v5
	v_sub_u32_e32 v17, v7, v11
	v_lshrrev_b32_e32 v5, 31, v12
	v_mul_hi_i32 v7, v8, s7
	v_ashrrev_i32_e32 v11, 4, v12
	v_add_u32_e32 v5, v11, v5
	v_mul_hi_i32 v11, v5, s6
	v_lshrrev_b32_e32 v12, 31, v7
	v_ashrrev_i32_e32 v7, 7, v7
	v_add_u32_e32 v7, v7, v12
	v_mul_hi_i32 v12, v7, s6
	v_lshrrev_b32_e32 v13, 31, v11
	v_add_u32_e32 v11, v11, v13
	v_mul_lo_u32 v11, v11, 6
	v_lshrrev_b32_e32 v13, 31, v12
	v_add_u32_e32 v12, v12, v13
	v_mul_lo_u32 v13, v12, 6
	v_sub_u32_e32 v18, v5, v11
	v_mad_i64_i32 v[11:12], s[0:1], v17, s8, v[0:1]
	v_lshl_add_u32 v5, v18, 2, v4
	v_sub_u32_e32 v13, v7, v13
	v_mad_i64_i32 v[11:12], s[0:1], v5, s9, v[11:12]
	v_ashrrev_i32_e32 v5, 31, v4
	v_lshl_add_u32 v14, v13, 2, v6
	v_lshlrev_b64 v[4:5], 4, v[4:5]
	v_ashrrev_i32_e32 v15, 31, v14
	v_lshlrev_b64 v[15:16], 2, v[14:15]
	v_add_co_u32_e32 v14, vcc, s2, v4
	v_ashrrev_i32_e32 v7, 31, v6
	v_addc_co_u32_e32 v19, vcc, v10, v5, vcc
	v_lshlrev_b64 v[4:5], 2, v[6:7]
	v_mad_i64_i32 v[6:7], s[0:1], v17, s3, v[2:3]
	v_add_co_u32_e32 v4, vcc, v14, v4
	v_addc_co_u32_e32 v5, vcc, v19, v5, vcc
	global_load_dword v17, v[4:5], off
	v_mad_i64_i32 v[4:5], s[0:1], v18, 24, v[6:7]
	v_ashrrev_i32_e32 v14, 31, v13
	v_lshlrev_b64 v[6:7], 2, v[13:14]
	s_mov_b64 s[0:1], 0
	v_add_co_u32_e32 v4, vcc, v4, v6
	v_addc_co_u32_e32 v5, vcc, v5, v7, vcc
	global_load_dword v6, v[4:5], off
	v_add_co_u32_e32 v4, vcc, v11, v15
	v_addc_co_u32_e32 v5, vcc, v12, v16, vcc
	global_load_dword v7, v[4:5], off
	s_waitcnt vmcnt(1)
	v_mul_f32_e32 v11, v17, v6
.LBB15_3:                               ;   Parent Loop BB15_2 Depth=1
                                        ; =>  This Inner Loop Header: Depth=2
	s_waitcnt vmcnt(0)
	v_add_f32_e32 v6, v7, v11
	global_atomic_cmpswap v6, v[4:5], v[6:7], off glc
	s_waitcnt vmcnt(0)
	v_cmp_eq_u32_e32 vcc, v6, v7
	s_or_b64 s[0:1], vcc, s[0:1]
	v_mov_b32_e32 v7, v6
	s_andn2_b64 exec, exec, s[0:1]
	s_cbranch_execnz .LBB15_3
; %bb.4:                                ;   in Loop: Header=BB15_2 Depth=1
	s_or_b64 exec, exec, s[0:1]
	v_add_u32_e32 v8, 1, v8
	v_cmp_ge_i32_e32 vcc, v8, v9
	s_or_b64 s[4:5], vcc, s[4:5]
	s_andn2_b64 exec, exec, s[4:5]
	s_cbranch_execnz .LBB15_2
.LBB15_5:
	s_endpgm
	.section	.rodata,"a",@progbits
	.p2align	6, 0x0
	.amdhsa_kernel _Z12bp_output_c1PA24_A24_fPA4_A4_fPA6_A6_f
		.amdhsa_group_segment_fixed_size 0
		.amdhsa_private_segment_fixed_size 0
		.amdhsa_kernarg_size 280
		.amdhsa_user_sgpr_count 6
		.amdhsa_user_sgpr_private_segment_buffer 1
		.amdhsa_user_sgpr_dispatch_ptr 0
		.amdhsa_user_sgpr_queue_ptr 0
		.amdhsa_user_sgpr_kernarg_segment_ptr 1
		.amdhsa_user_sgpr_dispatch_id 0
		.amdhsa_user_sgpr_flat_scratch_init 0
		.amdhsa_user_sgpr_private_segment_size 0
		.amdhsa_uses_dynamic_stack 0
		.amdhsa_system_sgpr_private_segment_wavefront_offset 0
		.amdhsa_system_sgpr_workgroup_id_x 1
		.amdhsa_system_sgpr_workgroup_id_y 0
		.amdhsa_system_sgpr_workgroup_id_z 0
		.amdhsa_system_sgpr_workgroup_info 0
		.amdhsa_system_vgpr_workitem_id 0
		.amdhsa_next_free_vgpr 20
		.amdhsa_next_free_sgpr 12
		.amdhsa_reserve_vcc 1
		.amdhsa_reserve_flat_scratch 0
		.amdhsa_float_round_mode_32 0
		.amdhsa_float_round_mode_16_64 0
		.amdhsa_float_denorm_mode_32 3
		.amdhsa_float_denorm_mode_16_64 3
		.amdhsa_dx10_clamp 1
		.amdhsa_ieee_mode 1
		.amdhsa_fp16_overflow 0
		.amdhsa_exception_fp_ieee_invalid_op 0
		.amdhsa_exception_fp_denorm_src 0
		.amdhsa_exception_fp_ieee_div_zero 0
		.amdhsa_exception_fp_ieee_overflow 0
		.amdhsa_exception_fp_ieee_underflow 0
		.amdhsa_exception_fp_ieee_inexact 0
		.amdhsa_exception_int_div_zero 0
	.end_amdhsa_kernel
	.text
.Lfunc_end15:
	.size	_Z12bp_output_c1PA24_A24_fPA4_A4_fPA6_A6_f, .Lfunc_end15-_Z12bp_output_c1PA24_A24_fPA4_A4_fPA6_A6_f
                                        ; -- End function
	.set _Z12bp_output_c1PA24_A24_fPA4_A4_fPA6_A6_f.num_vgpr, 20
	.set _Z12bp_output_c1PA24_A24_fPA4_A4_fPA6_A6_f.num_agpr, 0
	.set _Z12bp_output_c1PA24_A24_fPA4_A4_fPA6_A6_f.numbered_sgpr, 12
	.set _Z12bp_output_c1PA24_A24_fPA4_A4_fPA6_A6_f.num_named_barrier, 0
	.set _Z12bp_output_c1PA24_A24_fPA4_A4_fPA6_A6_f.private_seg_size, 0
	.set _Z12bp_output_c1PA24_A24_fPA4_A4_fPA6_A6_f.uses_vcc, 1
	.set _Z12bp_output_c1PA24_A24_fPA4_A4_fPA6_A6_f.uses_flat_scratch, 0
	.set _Z12bp_output_c1PA24_A24_fPA4_A4_fPA6_A6_f.has_dyn_sized_stack, 0
	.set _Z12bp_output_c1PA24_A24_fPA4_A4_fPA6_A6_f.has_recursion, 0
	.set _Z12bp_output_c1PA24_A24_fPA4_A4_fPA6_A6_f.has_indirect_call, 0
	.section	.AMDGPU.csdata,"",@progbits
; Kernel info:
; codeLenInByte = 760
; TotalNumSgprs: 16
; NumVgprs: 20
; ScratchSize: 0
; MemoryBound: 0
; FloatMode: 240
; IeeeMode: 1
; LDSByteSize: 0 bytes/workgroup (compile time only)
; SGPRBlocks: 1
; VGPRBlocks: 4
; NumSGPRsForWavesPerEU: 16
; NumVGPRsForWavesPerEU: 20
; Occupancy: 10
; WaveLimiterHint : 0
; COMPUTE_PGM_RSRC2:SCRATCH_EN: 0
; COMPUTE_PGM_RSRC2:USER_SGPR: 6
; COMPUTE_PGM_RSRC2:TRAP_HANDLER: 0
; COMPUTE_PGM_RSRC2:TGID_X_EN: 1
; COMPUTE_PGM_RSRC2:TGID_Y_EN: 0
; COMPUTE_PGM_RSRC2:TGID_Z_EN: 0
; COMPUTE_PGM_RSRC2:TIDIG_COMP_CNT: 0
	.text
	.protected	_Z12bp_preact_c1PA24_A24_fS1_S1_ ; -- Begin function _Z12bp_preact_c1PA24_A24_fS1_S1_
	.globl	_Z12bp_preact_c1PA24_A24_fS1_S1_
	.p2align	8
	.type	_Z12bp_preact_c1PA24_A24_fS1_S1_,@function
_Z12bp_preact_c1PA24_A24_fS1_S1_:       ; @_Z12bp_preact_c1PA24_A24_fS1_S1_
; %bb.0:
	s_load_dword s0, s[4:5], 0x24
	s_load_dword s1, s[4:5], 0x18
	s_movk_i32 s3, 0xd80
	s_waitcnt lgkmcnt(0)
	s_and_b32 s0, s0, 0xffff
	s_mul_i32 s1, s1, s0
	s_abs_i32 s2, s1
	v_cvt_f32_u32_e32 v1, s2
	s_mul_i32 s6, s6, s0
	s_ashr_i32 s0, s1, 31
	s_sub_i32 s1, 0, s2
	v_rcp_iflag_f32_e32 v1, v1
	v_add_u32_e32 v0, s6, v0
	v_mul_lo_u32 v0, v0, s3
	v_mul_f32_e32 v1, 0x4f7ffffe, v1
	v_cvt_u32_f32_e32 v1, v1
	v_sub_u32_e32 v4, 0, v0
	v_ashrrev_i32_e32 v3, 31, v0
	v_add_u32_e32 v5, 0xd80, v0
	v_mul_lo_u32 v2, s1, v1
	v_sub_u32_e32 v6, 0xfffff280, v0
	v_max_i32_e32 v0, v0, v4
	v_ashrrev_i32_e32 v4, 31, v5
	v_mul_hi_u32 v2, v1, v2
	v_max_i32_e32 v5, v5, v6
	v_xor_b32_e32 v3, s0, v3
	v_xor_b32_e32 v4, s0, v4
	v_add_u32_e32 v1, v1, v2
	v_mul_hi_u32 v2, v0, v1
	v_mul_hi_u32 v1, v5, v1
	v_mul_lo_u32 v6, v2, s2
	v_add_u32_e32 v7, 1, v2
	v_mul_lo_u32 v8, v1, s2
	v_sub_u32_e32 v0, v0, v6
	v_cmp_le_u32_e32 vcc, s2, v0
	v_subrev_u32_e32 v6, s2, v0
	v_cndmask_b32_e32 v2, v2, v7, vcc
	v_cndmask_b32_e32 v0, v0, v6, vcc
	v_add_u32_e32 v6, 1, v2
	v_cmp_le_u32_e32 vcc, s2, v0
	v_cndmask_b32_e32 v0, v2, v6, vcc
	v_xor_b32_e32 v0, v0, v3
	v_sub_u32_e32 v2, v5, v8
	v_sub_u32_e32 v0, v0, v3
	v_add_u32_e32 v3, 1, v1
	v_cmp_le_u32_e32 vcc, s2, v2
	v_cndmask_b32_e32 v1, v1, v3, vcc
	v_subrev_u32_e32 v3, s2, v2
	v_cndmask_b32_e32 v2, v2, v3, vcc
	v_add_u32_e32 v3, 1, v1
	v_cmp_le_u32_e32 vcc, s2, v2
	v_cndmask_b32_e32 v1, v1, v3, vcc
	v_xor_b32_e32 v1, v1, v4
	v_sub_u32_e32 v1, v1, v4
	v_cmp_lt_i32_e32 vcc, v0, v1
	s_and_saveexec_b64 s[0:1], vcc
	s_cbranch_execz .LBB16_3
; %bb.1:
	s_load_dwordx4 s[0:3], s[4:5], 0x0
	s_load_dwordx2 s[6:7], s[4:5], 0x10
	s_mov_b64 s[4:5], 0
	s_mov_b32 s8, 0x2aaaaaab
	s_mov_b32 s9, 0x38e38e39
	s_movk_i32 s10, 0x900
	s_waitcnt lgkmcnt(0)
	v_mov_b32_e32 v2, s7
	s_movk_i32 s7, 0x60
	s_mov_b32 s11, 0xbfb8aa3b
	s_mov_b32 s12, 0x42ce8ed0
	;; [unrolled: 1-line block ×3, first 2 shown]
	v_mov_b32_e32 v3, 0x7f800000
	v_mov_b32_e32 v4, s3
	;; [unrolled: 1-line block ×3, first 2 shown]
.LBB16_2:                               ; =>This Inner Loop Header: Depth=1
	v_mul_hi_i32 v6, v0, s8
	v_mul_hi_i32 v7, v0, s9
	v_lshrrev_b32_e32 v8, 31, v6
	v_lshrrev_b32_e32 v9, 31, v7
	v_ashrrev_i32_e32 v7, 5, v7
	v_add_u32_e32 v8, v6, v8
	v_add_u32_e32 v9, v7, v9
	v_mul_hi_i32 v10, v8, s8
	v_mul_hi_i32 v11, v9, s8
	v_mad_u64_u32 v[6:7], s[14:15], v8, -6, v[0:1]
	v_lshrrev_b32_e32 v12, 31, v10
	v_lshrrev_b32_e32 v10, 2, v10
	;; [unrolled: 1-line block ×4, first 2 shown]
	v_add_u32_e32 v10, v10, v12
	v_add_u32_e32 v11, v11, v13
	v_mul_lo_u32 v10, v10, 24
	v_mul_lo_u32 v11, v11, 24
	v_mad_i64_i32 v[6:7], s[14:15], v6, s10, 0
	v_sub_u32_e32 v10, v8, v10
	v_sub_u32_e32 v8, v9, v11
	v_mad_i64_i32 v[10:11], s[14:15], v10, s7, 0
	v_add_co_u32_e32 v12, vcc, s6, v6
	v_addc_co_u32_e32 v13, vcc, v2, v7, vcc
	v_ashrrev_i32_e32 v9, 31, v8
	v_lshlrev_b64 v[8:9], 2, v[8:9]
	v_add_co_u32_e32 v12, vcc, v12, v10
	v_addc_co_u32_e32 v13, vcc, v13, v11, vcc
	v_add_co_u32_e32 v12, vcc, v12, v8
	v_addc_co_u32_e32 v13, vcc, v13, v9, vcc
	global_load_dword v14, v[12:13], off
	v_add_co_u32_e32 v12, vcc, s2, v6
	v_addc_co_u32_e32 v13, vcc, v4, v7, vcc
	v_add_co_u32_e32 v12, vcc, v12, v10
	v_addc_co_u32_e32 v13, vcc, v13, v11, vcc
	;; [unrolled: 2-line block ×3, first 2 shown]
	global_load_dword v12, v[12:13], off
	v_add_u32_e32 v0, 1, v0
	s_waitcnt vmcnt(1)
	v_mul_f32_e32 v13, 0xbfb8aa3b, v14
	v_fma_f32 v15, v14, s11, -v13
	v_rndne_f32_e32 v16, v13
	v_fmac_f32_e32 v15, 0xb2a5705f, v14
	v_sub_f32_e32 v13, v13, v16
	v_add_f32_e32 v13, v13, v15
	v_cvt_i32_f32_e32 v16, v16
	v_exp_f32_e32 v13, v13
	v_cmp_nlt_f32_e32 vcc, s12, v14
	v_ldexp_f32 v13, v13, v16
	v_cndmask_b32_e32 v13, 0, v13, vcc
	v_cmp_ngt_f32_e32 vcc, s13, v14
	v_cndmask_b32_e32 v13, v3, v13, vcc
	v_add_f32_e32 v13, 1.0, v13
	v_div_scale_f32 v14, s[14:15], v13, v13, 1.0
	v_div_scale_f32 v15, vcc, 1.0, v13, 1.0
	v_rcp_f32_e32 v16, v14
	v_fma_f32 v17, -v14, v16, 1.0
	v_fmac_f32_e32 v16, v17, v16
	v_mul_f32_e32 v17, v15, v16
	v_fma_f32 v18, -v14, v17, v15
	v_fmac_f32_e32 v17, v18, v16
	v_fma_f32 v14, -v14, v17, v15
	v_div_fmas_f32 v14, v14, v16, v17
	v_cmp_ge_i32_e32 vcc, v0, v1
	s_or_b64 s[4:5], vcc, s[4:5]
	v_add_co_u32_e32 v6, vcc, s0, v6
	v_addc_co_u32_e32 v7, vcc, v5, v7, vcc
	v_add_co_u32_e32 v6, vcc, v6, v10
	v_addc_co_u32_e32 v7, vcc, v7, v11, vcc
	v_add_co_u32_e32 v6, vcc, v6, v8
	v_addc_co_u32_e32 v7, vcc, v7, v9, vcc
	v_div_fixup_f32 v8, v14, v13, 1.0
	s_waitcnt vmcnt(0)
	v_mul_f32_e32 v9, v12, v8
	v_sub_f32_e32 v8, 1.0, v8
	v_mul_f32_e32 v8, v9, v8
	global_store_dword v[6:7], v8, off
	s_andn2_b64 exec, exec, s[4:5]
	s_cbranch_execnz .LBB16_2
.LBB16_3:
	s_endpgm
	.section	.rodata,"a",@progbits
	.p2align	6, 0x0
	.amdhsa_kernel _Z12bp_preact_c1PA24_A24_fS1_S1_
		.amdhsa_group_segment_fixed_size 0
		.amdhsa_private_segment_fixed_size 0
		.amdhsa_kernarg_size 280
		.amdhsa_user_sgpr_count 6
		.amdhsa_user_sgpr_private_segment_buffer 1
		.amdhsa_user_sgpr_dispatch_ptr 0
		.amdhsa_user_sgpr_queue_ptr 0
		.amdhsa_user_sgpr_kernarg_segment_ptr 1
		.amdhsa_user_sgpr_dispatch_id 0
		.amdhsa_user_sgpr_flat_scratch_init 0
		.amdhsa_user_sgpr_private_segment_size 0
		.amdhsa_uses_dynamic_stack 0
		.amdhsa_system_sgpr_private_segment_wavefront_offset 0
		.amdhsa_system_sgpr_workgroup_id_x 1
		.amdhsa_system_sgpr_workgroup_id_y 0
		.amdhsa_system_sgpr_workgroup_id_z 0
		.amdhsa_system_sgpr_workgroup_info 0
		.amdhsa_system_vgpr_workitem_id 0
		.amdhsa_next_free_vgpr 19
		.amdhsa_next_free_sgpr 16
		.amdhsa_reserve_vcc 1
		.amdhsa_reserve_flat_scratch 0
		.amdhsa_float_round_mode_32 0
		.amdhsa_float_round_mode_16_64 0
		.amdhsa_float_denorm_mode_32 3
		.amdhsa_float_denorm_mode_16_64 3
		.amdhsa_dx10_clamp 1
		.amdhsa_ieee_mode 1
		.amdhsa_fp16_overflow 0
		.amdhsa_exception_fp_ieee_invalid_op 0
		.amdhsa_exception_fp_denorm_src 0
		.amdhsa_exception_fp_ieee_div_zero 0
		.amdhsa_exception_fp_ieee_overflow 0
		.amdhsa_exception_fp_ieee_underflow 0
		.amdhsa_exception_fp_ieee_inexact 0
		.amdhsa_exception_int_div_zero 0
	.end_amdhsa_kernel
	.text
.Lfunc_end16:
	.size	_Z12bp_preact_c1PA24_A24_fS1_S1_, .Lfunc_end16-_Z12bp_preact_c1PA24_A24_fS1_S1_
                                        ; -- End function
	.set _Z12bp_preact_c1PA24_A24_fS1_S1_.num_vgpr, 19
	.set _Z12bp_preact_c1PA24_A24_fS1_S1_.num_agpr, 0
	.set _Z12bp_preact_c1PA24_A24_fS1_S1_.numbered_sgpr, 16
	.set _Z12bp_preact_c1PA24_A24_fS1_S1_.num_named_barrier, 0
	.set _Z12bp_preact_c1PA24_A24_fS1_S1_.private_seg_size, 0
	.set _Z12bp_preact_c1PA24_A24_fS1_S1_.uses_vcc, 1
	.set _Z12bp_preact_c1PA24_A24_fS1_S1_.uses_flat_scratch, 0
	.set _Z12bp_preact_c1PA24_A24_fS1_S1_.has_dyn_sized_stack, 0
	.set _Z12bp_preact_c1PA24_A24_fS1_S1_.has_recursion, 0
	.set _Z12bp_preact_c1PA24_A24_fS1_S1_.has_indirect_call, 0
	.section	.AMDGPU.csdata,"",@progbits
; Kernel info:
; codeLenInByte = 792
; TotalNumSgprs: 20
; NumVgprs: 19
; ScratchSize: 0
; MemoryBound: 0
; FloatMode: 240
; IeeeMode: 1
; LDSByteSize: 0 bytes/workgroup (compile time only)
; SGPRBlocks: 2
; VGPRBlocks: 4
; NumSGPRsForWavesPerEU: 20
; NumVGPRsForWavesPerEU: 19
; Occupancy: 10
; WaveLimiterHint : 0
; COMPUTE_PGM_RSRC2:SCRATCH_EN: 0
; COMPUTE_PGM_RSRC2:USER_SGPR: 6
; COMPUTE_PGM_RSRC2:TRAP_HANDLER: 0
; COMPUTE_PGM_RSRC2:TGID_X_EN: 1
; COMPUTE_PGM_RSRC2:TGID_Y_EN: 0
; COMPUTE_PGM_RSRC2:TGID_Z_EN: 0
; COMPUTE_PGM_RSRC2:TIDIG_COMP_CNT: 0
	.text
	.protected	_Z12bp_weight_c1PA5_A5_fPA24_A24_fPA28_f ; -- Begin function _Z12bp_weight_c1PA5_A5_fPA24_A24_fPA28_f
	.globl	_Z12bp_weight_c1PA5_A5_fPA24_A24_fPA28_f
	.p2align	8
	.type	_Z12bp_weight_c1PA5_A5_fPA24_A24_fPA28_f,@function
_Z12bp_weight_c1PA5_A5_fPA24_A24_fPA28_f: ; @_Z12bp_weight_c1PA5_A5_fPA24_A24_fPA28_f
; %bb.0:
	s_load_dword s0, s[4:5], 0x24
	s_load_dword s1, s[4:5], 0x18
	s_mov_b32 s3, 0x15180
	s_waitcnt lgkmcnt(0)
	s_and_b32 s0, s0, 0xffff
	s_mul_i32 s1, s1, s0
	s_abs_i32 s2, s1
	v_cvt_f32_u32_e32 v1, s2
	s_mul_i32 s6, s6, s0
	s_ashr_i32 s0, s1, 31
	s_sub_i32 s1, 0, s2
	v_rcp_iflag_f32_e32 v1, v1
	v_add_u32_e32 v0, s6, v0
	v_mul_lo_u32 v0, v0, s3
	v_mul_f32_e32 v1, 0x4f7ffffe, v1
	v_cvt_u32_f32_e32 v1, v1
	v_sub_u32_e32 v4, 0, v0
	v_ashrrev_i32_e32 v3, 31, v0
	v_add_u32_e32 v5, 0x15180, v0
	v_mul_lo_u32 v2, s1, v1
	v_sub_u32_e32 v6, 0xfffeae80, v0
	v_max_i32_e32 v0, v0, v4
	v_ashrrev_i32_e32 v4, 31, v5
	v_mul_hi_u32 v2, v1, v2
	v_max_i32_e32 v5, v5, v6
	v_xor_b32_e32 v3, s0, v3
	v_xor_b32_e32 v4, s0, v4
	v_add_u32_e32 v1, v1, v2
	v_mul_hi_u32 v2, v0, v1
	v_mul_hi_u32 v1, v5, v1
	v_mul_lo_u32 v6, v2, s2
	v_add_u32_e32 v7, 1, v2
	v_mul_lo_u32 v8, v1, s2
	v_sub_u32_e32 v0, v0, v6
	v_cmp_le_u32_e32 vcc, s2, v0
	v_subrev_u32_e32 v6, s2, v0
	v_cndmask_b32_e32 v2, v2, v7, vcc
	v_cndmask_b32_e32 v0, v0, v6, vcc
	v_add_u32_e32 v6, 1, v2
	v_cmp_le_u32_e32 vcc, s2, v0
	v_cndmask_b32_e32 v0, v2, v6, vcc
	v_xor_b32_e32 v0, v0, v3
	v_sub_u32_e32 v10, v0, v3
	v_sub_u32_e32 v0, v5, v8
	v_add_u32_e32 v2, 1, v1
	v_cmp_le_u32_e32 vcc, s2, v0
	v_cndmask_b32_e32 v1, v1, v2, vcc
	v_subrev_u32_e32 v2, s2, v0
	v_cndmask_b32_e32 v0, v0, v2, vcc
	v_add_u32_e32 v2, 1, v1
	v_cmp_le_u32_e32 vcc, s2, v0
	v_cndmask_b32_e32 v0, v1, v2, vcc
	v_xor_b32_e32 v0, v0, v4
	v_sub_u32_e32 v11, v0, v4
	v_cmp_lt_i32_e32 vcc, v10, v11
	s_and_saveexec_b64 s[0:1], vcc
	s_cbranch_execz .LBB17_5
; %bb.1:
	s_load_dwordx4 s[12:15], s[4:5], 0x0
	s_load_dwordx2 s[2:3], s[4:5], 0x10
	s_mov_b64 s[0:1], 0
	s_mov_b32 s4, 0x2aaaaaab
	s_mov_b32 s5, 0x66666667
	s_waitcnt lgkmcnt(0)
	v_mov_b32_e32 v0, s12
	v_mov_b32_e32 v2, s14
	;; [unrolled: 1-line block ×3, first 2 shown]
	s_mov_b32 s6, 0x88888889
	s_mov_b32 s7, 0x1b4e81b5
	;; [unrolled: 1-line block ×3, first 2 shown]
	s_movk_i32 s9, 0x64
	v_mov_b32_e32 v1, s13
	s_movk_i32 s10, 0x900
	v_mov_b32_e32 v3, s15
	s_movk_i32 s11, 0x60
	s_movk_i32 s12, 0x70
	v_mov_b32_e32 v4, s2
	s_mov_b32 s13, 0x44100000
.LBB17_2:                               ; =>This Loop Header: Depth=1
                                        ;     Child Loop BB17_3 Depth 2
	v_mul_hi_i32 v6, v10, s4
	v_mul_hi_i32 v7, v10, s6
	v_mul_hi_i32 v13, v10, s8
	v_lshrrev_b32_e32 v8, 31, v6
	v_add_u32_e32 v6, v6, v8
	v_mul_lo_u32 v8, v6, 6
	v_mul_hi_i32 v9, v6, s5
	v_add_u32_e32 v7, v7, v10
	v_lshrrev_b32_e32 v12, 31, v7
	v_sub_u32_e32 v15, v10, v8
	v_lshrrev_b32_e32 v8, 31, v9
	v_ashrrev_i32_e32 v9, 1, v9
	v_ashrrev_i32_e32 v7, 4, v7
	v_add_u32_e32 v8, v9, v8
	v_add_u32_e32 v7, v7, v12
	v_mul_hi_i32 v9, v7, s5
	v_lshl_add_u32 v8, v8, 2, v8
	v_sub_u32_e32 v16, v6, v8
	v_mul_hi_i32 v6, v10, s7
	v_lshrrev_b32_e32 v8, 31, v9
	v_ashrrev_i32_e32 v9, 1, v9
	v_add_u32_e32 v8, v9, v8
	v_lshrrev_b32_e32 v9, 31, v6
	v_ashrrev_i32_e32 v6, 4, v6
	v_add_u32_e32 v9, v6, v9
	v_lshl_add_u32 v6, v8, 2, v8
	v_add_u32_e32 v8, v13, v10
	v_mul_hi_i32 v12, v9, s4
	v_lshrrev_b32_e32 v13, 31, v8
	v_ashrrev_i32_e32 v8, 11, v8
	v_add_u32_e32 v13, v8, v13
	v_mul_hi_i32 v8, v13, s4
	v_sub_u32_e32 v6, v7, v6
	v_lshrrev_b32_e32 v7, 31, v12
	v_lshrrev_b32_e32 v12, 2, v12
	v_add_u32_e32 v7, v12, v7
	v_mul_lo_u32 v12, v7, 24
	v_lshrrev_b32_e32 v7, 31, v8
	v_lshrrev_b32_e32 v8, 2, v8
	v_add_u32_e32 v7, v8, v7
	v_mul_lo_u32 v14, v7, 24
	v_mad_i64_i32 v[7:8], s[2:3], v15, s10, v[2:3]
	v_sub_u32_e32 v9, v9, v12
	v_sub_u32_e32 v12, v13, v14
	v_mad_i64_i32 v[7:8], s[2:3], v9, s11, v[7:8]
	v_ashrrev_i32_e32 v13, 31, v12
	v_lshlrev_b64 v[13:14], 2, v[12:13]
	v_add_u32_e32 v12, v12, v6
	v_add_co_u32_e32 v7, vcc, v7, v13
	v_addc_co_u32_e32 v8, vcc, v8, v14, vcc
	global_load_dword v14, v[7:8], off
	v_add_u32_e32 v7, v9, v16
	v_mad_i64_i32 v[7:8], s[2:3], v7, s12, v[4:5]
	v_ashrrev_i32_e32 v13, 31, v12
	v_lshlrev_b64 v[12:13], 2, v[12:13]
	v_add_co_u32_e32 v7, vcc, v7, v12
	v_addc_co_u32_e32 v8, vcc, v8, v13, vcc
	global_load_dword v12, v[7:8], off
	v_mad_i64_i32 v[7:8], s[2:3], v15, s9, v[0:1]
	v_mad_i64_i32 v[8:9], s[2:3], v16, 20, v[7:8]
	v_ashrrev_i32_e32 v7, 31, v6
	v_lshlrev_b64 v[6:7], 2, v[6:7]
	v_add_co_u32_e32 v6, vcc, v8, v6
	v_addc_co_u32_e32 v7, vcc, v9, v7, vcc
	global_load_dword v9, v[6:7], off
	s_waitcnt vmcnt(1)
	v_mul_f32_e32 v8, v14, v12
	v_div_scale_f32 v12, s[2:3], s13, s13, v8
	v_div_scale_f32 v13, vcc, v8, s13, v8
	s_mov_b64 s[2:3], 0
	v_rcp_f32_e32 v14, v12
	v_fma_f32 v15, -v12, v14, 1.0
	v_fmac_f32_e32 v14, v15, v14
	v_mul_f32_e32 v15, v13, v14
	v_fma_f32 v16, -v12, v15, v13
	v_fmac_f32_e32 v15, v16, v14
	v_fma_f32 v12, -v12, v15, v13
	v_div_fmas_f32 v12, v12, v14, v15
	v_div_fixup_f32 v12, v12, s13, v8
.LBB17_3:                               ;   Parent Loop BB17_2 Depth=1
                                        ; =>  This Inner Loop Header: Depth=2
	s_waitcnt vmcnt(0)
	v_add_f32_e32 v8, v9, v12
	global_atomic_cmpswap v8, v[6:7], v[8:9], off glc
	s_waitcnt vmcnt(0)
	v_cmp_eq_u32_e32 vcc, v8, v9
	s_or_b64 s[2:3], vcc, s[2:3]
	v_mov_b32_e32 v9, v8
	s_andn2_b64 exec, exec, s[2:3]
	s_cbranch_execnz .LBB17_3
; %bb.4:                                ;   in Loop: Header=BB17_2 Depth=1
	s_or_b64 exec, exec, s[2:3]
	v_add_u32_e32 v10, 1, v10
	v_cmp_ge_i32_e32 vcc, v10, v11
	s_or_b64 s[0:1], vcc, s[0:1]
	s_andn2_b64 exec, exec, s[0:1]
	s_cbranch_execnz .LBB17_2
.LBB17_5:
	s_endpgm
	.section	.rodata,"a",@progbits
	.p2align	6, 0x0
	.amdhsa_kernel _Z12bp_weight_c1PA5_A5_fPA24_A24_fPA28_f
		.amdhsa_group_segment_fixed_size 0
		.amdhsa_private_segment_fixed_size 0
		.amdhsa_kernarg_size 280
		.amdhsa_user_sgpr_count 6
		.amdhsa_user_sgpr_private_segment_buffer 1
		.amdhsa_user_sgpr_dispatch_ptr 0
		.amdhsa_user_sgpr_queue_ptr 0
		.amdhsa_user_sgpr_kernarg_segment_ptr 1
		.amdhsa_user_sgpr_dispatch_id 0
		.amdhsa_user_sgpr_flat_scratch_init 0
		.amdhsa_user_sgpr_private_segment_size 0
		.amdhsa_uses_dynamic_stack 0
		.amdhsa_system_sgpr_private_segment_wavefront_offset 0
		.amdhsa_system_sgpr_workgroup_id_x 1
		.amdhsa_system_sgpr_workgroup_id_y 0
		.amdhsa_system_sgpr_workgroup_id_z 0
		.amdhsa_system_sgpr_workgroup_info 0
		.amdhsa_system_vgpr_workitem_id 0
		.amdhsa_next_free_vgpr 17
		.amdhsa_next_free_sgpr 16
		.amdhsa_reserve_vcc 1
		.amdhsa_reserve_flat_scratch 0
		.amdhsa_float_round_mode_32 0
		.amdhsa_float_round_mode_16_64 0
		.amdhsa_float_denorm_mode_32 3
		.amdhsa_float_denorm_mode_16_64 3
		.amdhsa_dx10_clamp 1
		.amdhsa_ieee_mode 1
		.amdhsa_fp16_overflow 0
		.amdhsa_exception_fp_ieee_invalid_op 0
		.amdhsa_exception_fp_denorm_src 0
		.amdhsa_exception_fp_ieee_div_zero 0
		.amdhsa_exception_fp_ieee_overflow 0
		.amdhsa_exception_fp_ieee_underflow 0
		.amdhsa_exception_fp_ieee_inexact 0
		.amdhsa_exception_int_div_zero 0
	.end_amdhsa_kernel
	.text
.Lfunc_end17:
	.size	_Z12bp_weight_c1PA5_A5_fPA24_A24_fPA28_f, .Lfunc_end17-_Z12bp_weight_c1PA5_A5_fPA24_A24_fPA28_f
                                        ; -- End function
	.set _Z12bp_weight_c1PA5_A5_fPA24_A24_fPA28_f.num_vgpr, 17
	.set _Z12bp_weight_c1PA5_A5_fPA24_A24_fPA28_f.num_agpr, 0
	.set _Z12bp_weight_c1PA5_A5_fPA24_A24_fPA28_f.numbered_sgpr, 16
	.set _Z12bp_weight_c1PA5_A5_fPA24_A24_fPA28_f.num_named_barrier, 0
	.set _Z12bp_weight_c1PA5_A5_fPA24_A24_fPA28_f.private_seg_size, 0
	.set _Z12bp_weight_c1PA5_A5_fPA24_A24_fPA28_f.uses_vcc, 1
	.set _Z12bp_weight_c1PA5_A5_fPA24_A24_fPA28_f.uses_flat_scratch, 0
	.set _Z12bp_weight_c1PA5_A5_fPA24_A24_fPA28_f.has_dyn_sized_stack, 0
	.set _Z12bp_weight_c1PA5_A5_fPA24_A24_fPA28_f.has_recursion, 0
	.set _Z12bp_weight_c1PA5_A5_fPA24_A24_fPA28_f.has_indirect_call, 0
	.section	.AMDGPU.csdata,"",@progbits
; Kernel info:
; codeLenInByte = 904
; TotalNumSgprs: 20
; NumVgprs: 17
; ScratchSize: 0
; MemoryBound: 0
; FloatMode: 240
; IeeeMode: 1
; LDSByteSize: 0 bytes/workgroup (compile time only)
; SGPRBlocks: 2
; VGPRBlocks: 4
; NumSGPRsForWavesPerEU: 20
; NumVGPRsForWavesPerEU: 17
; Occupancy: 10
; WaveLimiterHint : 0
; COMPUTE_PGM_RSRC2:SCRATCH_EN: 0
; COMPUTE_PGM_RSRC2:USER_SGPR: 6
; COMPUTE_PGM_RSRC2:TRAP_HANDLER: 0
; COMPUTE_PGM_RSRC2:TGID_X_EN: 1
; COMPUTE_PGM_RSRC2:TGID_Y_EN: 0
; COMPUTE_PGM_RSRC2:TGID_Z_EN: 0
; COMPUTE_PGM_RSRC2:TIDIG_COMP_CNT: 0
	.text
	.protected	_Z10bp_bias_c1PfPA24_A24_f ; -- Begin function _Z10bp_bias_c1PfPA24_A24_f
	.globl	_Z10bp_bias_c1PfPA24_A24_f
	.p2align	8
	.type	_Z10bp_bias_c1PfPA24_A24_f,@function
_Z10bp_bias_c1PfPA24_A24_f:             ; @_Z10bp_bias_c1PfPA24_A24_f
; %bb.0:
	s_load_dword s0, s[4:5], 0x1c
	s_load_dword s1, s[4:5], 0x10
	s_movk_i32 s3, 0xd80
	s_waitcnt lgkmcnt(0)
	s_and_b32 s0, s0, 0xffff
	s_mul_i32 s1, s1, s0
	s_abs_i32 s2, s1
	v_cvt_f32_u32_e32 v1, s2
	s_mul_i32 s6, s6, s0
	s_ashr_i32 s0, s1, 31
	s_sub_i32 s1, 0, s2
	v_rcp_iflag_f32_e32 v1, v1
	v_add_u32_e32 v0, s6, v0
	v_mul_lo_u32 v0, v0, s3
	v_mul_f32_e32 v1, 0x4f7ffffe, v1
	v_cvt_u32_f32_e32 v1, v1
	v_sub_u32_e32 v4, 0, v0
	v_ashrrev_i32_e32 v3, 31, v0
	v_add_u32_e32 v5, 0xd80, v0
	v_mul_lo_u32 v2, s1, v1
	v_sub_u32_e32 v6, 0xfffff280, v0
	v_max_i32_e32 v0, v0, v4
	v_ashrrev_i32_e32 v4, 31, v5
	v_mul_hi_u32 v2, v1, v2
	v_max_i32_e32 v5, v5, v6
	v_xor_b32_e32 v3, s0, v3
	v_xor_b32_e32 v4, s0, v4
	v_add_u32_e32 v1, v1, v2
	v_mul_hi_u32 v2, v0, v1
	v_mul_hi_u32 v1, v5, v1
	v_mul_lo_u32 v6, v2, s2
	v_add_u32_e32 v7, 1, v2
	v_mul_lo_u32 v8, v1, s2
	v_sub_u32_e32 v0, v0, v6
	v_cmp_le_u32_e32 vcc, s2, v0
	v_subrev_u32_e32 v6, s2, v0
	v_cndmask_b32_e32 v2, v2, v7, vcc
	v_cndmask_b32_e32 v0, v0, v6, vcc
	v_add_u32_e32 v6, 1, v2
	v_cmp_le_u32_e32 vcc, s2, v0
	v_cndmask_b32_e32 v0, v2, v6, vcc
	v_xor_b32_e32 v0, v0, v3
	v_sub_u32_e32 v6, v0, v3
	v_sub_u32_e32 v0, v5, v8
	v_add_u32_e32 v2, 1, v1
	v_cmp_le_u32_e32 vcc, s2, v0
	v_cndmask_b32_e32 v1, v1, v2, vcc
	v_subrev_u32_e32 v2, s2, v0
	v_cndmask_b32_e32 v0, v0, v2, vcc
	v_add_u32_e32 v2, 1, v1
	v_cmp_le_u32_e32 vcc, s2, v0
	v_cndmask_b32_e32 v0, v1, v2, vcc
	v_xor_b32_e32 v0, v0, v4
	v_sub_u32_e32 v7, v0, v4
	v_cmp_lt_i32_e32 vcc, v6, v7
	s_and_saveexec_b64 s[0:1], vcc
	s_cbranch_execz .LBB18_5
; %bb.1:
	s_load_dwordx4 s[0:3], s[4:5], 0x0
	s_mov_b64 s[4:5], 0
	s_mov_b32 s6, 0x2aaaaaab
	s_mov_b32 s7, 0x38e38e39
	s_movk_i32 s8, 0x900
	s_waitcnt lgkmcnt(0)
	v_mov_b32_e32 v0, s2
	v_mov_b32_e32 v8, s1
	;; [unrolled: 1-line block ×3, first 2 shown]
	s_movk_i32 s1, 0x60
	s_mov_b32 s9, 0x44100000
.LBB18_2:                               ; =>This Loop Header: Depth=1
                                        ;     Child Loop BB18_3 Depth 2
	v_mul_hi_i32 v2, v6, s6
	v_mul_hi_i32 v3, v6, s7
	v_lshrrev_b32_e32 v4, 31, v2
	v_add_u32_e32 v9, v2, v4
	v_lshrrev_b32_e32 v5, 31, v3
	v_mul_hi_i32 v4, v9, s6
	v_ashrrev_i32_e32 v3, 5, v3
	v_add_u32_e32 v5, v3, v5
	v_mul_hi_i32 v10, v5, s6
	v_mul_lo_u32 v2, v9, 6
	v_lshrrev_b32_e32 v3, 31, v4
	v_lshrrev_b32_e32 v4, 2, v4
	v_add_u32_e32 v3, v4, v3
	v_mul_lo_u32 v11, v3, 24
	v_lshrrev_b32_e32 v3, 31, v10
	v_lshrrev_b32_e32 v4, 2, v10
	v_sub_u32_e32 v2, v6, v2
	v_add_u32_e32 v3, v4, v3
	v_mul_lo_u32 v10, v3, 24
	v_mad_i64_i32 v[3:4], s[2:3], v2, s8, v[0:1]
	v_sub_u32_e32 v11, v9, v11
	v_sub_u32_e32 v9, v5, v10
	v_mad_i64_i32 v[3:4], s[2:3], v11, s1, v[3:4]
	v_ashrrev_i32_e32 v10, 31, v9
	v_lshlrev_b64 v[9:10], 2, v[9:10]
	v_add_co_u32_e32 v3, vcc, v3, v9
	v_addc_co_u32_e32 v4, vcc, v4, v10, vcc
	global_load_dword v4, v[3:4], off
	v_ashrrev_i32_e32 v3, 31, v2
	v_lshlrev_b64 v[2:3], 2, v[2:3]
	v_add_co_u32_e32 v2, vcc, s0, v2
	v_addc_co_u32_e32 v3, vcc, v8, v3, vcc
	global_load_dword v5, v[2:3], off
	s_waitcnt vmcnt(1)
	v_mul_f32_e32 v4, 0x3dcccccd, v4
	v_div_scale_f32 v9, s[2:3], s9, s9, v4
	v_div_scale_f32 v10, vcc, v4, s9, v4
	s_mov_b64 s[2:3], 0
	v_rcp_f32_e32 v11, v9
	v_fma_f32 v12, -v9, v11, 1.0
	v_fmac_f32_e32 v11, v12, v11
	v_mul_f32_e32 v12, v10, v11
	v_fma_f32 v13, -v9, v12, v10
	v_fmac_f32_e32 v12, v13, v11
	v_fma_f32 v9, -v9, v12, v10
	v_div_fmas_f32 v9, v9, v11, v12
	v_div_fixup_f32 v9, v9, s9, v4
.LBB18_3:                               ;   Parent Loop BB18_2 Depth=1
                                        ; =>  This Inner Loop Header: Depth=2
	s_waitcnt vmcnt(0)
	v_add_f32_e32 v4, v5, v9
	global_atomic_cmpswap v4, v[2:3], v[4:5], off glc
	s_waitcnt vmcnt(0)
	v_cmp_eq_u32_e32 vcc, v4, v5
	s_or_b64 s[2:3], vcc, s[2:3]
	v_mov_b32_e32 v5, v4
	s_andn2_b64 exec, exec, s[2:3]
	s_cbranch_execnz .LBB18_3
; %bb.4:                                ;   in Loop: Header=BB18_2 Depth=1
	s_or_b64 exec, exec, s[2:3]
	v_add_u32_e32 v6, 1, v6
	v_cmp_ge_i32_e32 vcc, v6, v7
	s_or_b64 s[4:5], vcc, s[4:5]
	s_andn2_b64 exec, exec, s[4:5]
	s_cbranch_execnz .LBB18_2
.LBB18_5:
	s_endpgm
	.section	.rodata,"a",@progbits
	.p2align	6, 0x0
	.amdhsa_kernel _Z10bp_bias_c1PfPA24_A24_f
		.amdhsa_group_segment_fixed_size 0
		.amdhsa_private_segment_fixed_size 0
		.amdhsa_kernarg_size 272
		.amdhsa_user_sgpr_count 6
		.amdhsa_user_sgpr_private_segment_buffer 1
		.amdhsa_user_sgpr_dispatch_ptr 0
		.amdhsa_user_sgpr_queue_ptr 0
		.amdhsa_user_sgpr_kernarg_segment_ptr 1
		.amdhsa_user_sgpr_dispatch_id 0
		.amdhsa_user_sgpr_flat_scratch_init 0
		.amdhsa_user_sgpr_private_segment_size 0
		.amdhsa_uses_dynamic_stack 0
		.amdhsa_system_sgpr_private_segment_wavefront_offset 0
		.amdhsa_system_sgpr_workgroup_id_x 1
		.amdhsa_system_sgpr_workgroup_id_y 0
		.amdhsa_system_sgpr_workgroup_id_z 0
		.amdhsa_system_sgpr_workgroup_info 0
		.amdhsa_system_vgpr_workitem_id 0
		.amdhsa_next_free_vgpr 14
		.amdhsa_next_free_sgpr 10
		.amdhsa_reserve_vcc 1
		.amdhsa_reserve_flat_scratch 0
		.amdhsa_float_round_mode_32 0
		.amdhsa_float_round_mode_16_64 0
		.amdhsa_float_denorm_mode_32 3
		.amdhsa_float_denorm_mode_16_64 3
		.amdhsa_dx10_clamp 1
		.amdhsa_ieee_mode 1
		.amdhsa_fp16_overflow 0
		.amdhsa_exception_fp_ieee_invalid_op 0
		.amdhsa_exception_fp_denorm_src 0
		.amdhsa_exception_fp_ieee_div_zero 0
		.amdhsa_exception_fp_ieee_overflow 0
		.amdhsa_exception_fp_ieee_underflow 0
		.amdhsa_exception_fp_ieee_inexact 0
		.amdhsa_exception_int_div_zero 0
	.end_amdhsa_kernel
	.text
.Lfunc_end18:
	.size	_Z10bp_bias_c1PfPA24_A24_f, .Lfunc_end18-_Z10bp_bias_c1PfPA24_A24_f
                                        ; -- End function
	.set _Z10bp_bias_c1PfPA24_A24_f.num_vgpr, 14
	.set _Z10bp_bias_c1PfPA24_A24_f.num_agpr, 0
	.set _Z10bp_bias_c1PfPA24_A24_f.numbered_sgpr, 10
	.set _Z10bp_bias_c1PfPA24_A24_f.num_named_barrier, 0
	.set _Z10bp_bias_c1PfPA24_A24_f.private_seg_size, 0
	.set _Z10bp_bias_c1PfPA24_A24_f.uses_vcc, 1
	.set _Z10bp_bias_c1PfPA24_A24_f.uses_flat_scratch, 0
	.set _Z10bp_bias_c1PfPA24_A24_f.has_dyn_sized_stack, 0
	.set _Z10bp_bias_c1PfPA24_A24_f.has_recursion, 0
	.set _Z10bp_bias_c1PfPA24_A24_f.has_indirect_call, 0
	.section	.AMDGPU.csdata,"",@progbits
; Kernel info:
; codeLenInByte = 680
; TotalNumSgprs: 14
; NumVgprs: 14
; ScratchSize: 0
; MemoryBound: 0
; FloatMode: 240
; IeeeMode: 1
; LDSByteSize: 0 bytes/workgroup (compile time only)
; SGPRBlocks: 1
; VGPRBlocks: 3
; NumSGPRsForWavesPerEU: 14
; NumVGPRsForWavesPerEU: 14
; Occupancy: 10
; WaveLimiterHint : 0
; COMPUTE_PGM_RSRC2:SCRATCH_EN: 0
; COMPUTE_PGM_RSRC2:USER_SGPR: 6
; COMPUTE_PGM_RSRC2:TRAP_HANDLER: 0
; COMPUTE_PGM_RSRC2:TGID_X_EN: 1
; COMPUTE_PGM_RSRC2:TGID_Y_EN: 0
; COMPUTE_PGM_RSRC2:TGID_Z_EN: 0
; COMPUTE_PGM_RSRC2:TIDIG_COMP_CNT: 0
	.section	.AMDGPU.gpr_maximums,"",@progbits
	.set amdgpu.max_num_vgpr, 0
	.set amdgpu.max_num_agpr, 0
	.set amdgpu.max_num_sgpr, 0
	.section	.AMDGPU.csdata,"",@progbits
	.type	__hip_cuid_3d288c3c116c3b57,@object ; @__hip_cuid_3d288c3c116c3b57
	.section	.bss,"aw",@nobits
	.globl	__hip_cuid_3d288c3c116c3b57
__hip_cuid_3d288c3c116c3b57:
	.byte	0                               ; 0x0
	.size	__hip_cuid_3d288c3c116c3b57, 1

	.ident	"AMD clang version 22.0.0git (https://github.com/RadeonOpenCompute/llvm-project roc-7.2.4 26084 f58b06dce1f9c15707c5f808fd002e18c2accf7e)"
	.section	".note.GNU-stack","",@progbits
	.addrsig
	.addrsig_sym __hip_cuid_3d288c3c116c3b57
	.amdgpu_metadata
---
amdhsa.kernels:
  - .args:
      - .address_space:  global
        .offset:         0
        .size:           8
        .value_kind:     global_buffer
      - .address_space:  global
        .offset:         8
        .size:           8
        .value_kind:     global_buffer
      - .offset:         16
        .size:           4
        .value_kind:     by_value
      - .offset:         24
        .size:           4
        .value_kind:     hidden_block_count_x
      - .offset:         28
        .size:           4
        .value_kind:     hidden_block_count_y
      - .offset:         32
        .size:           4
        .value_kind:     hidden_block_count_z
      - .offset:         36
        .size:           2
        .value_kind:     hidden_group_size_x
      - .offset:         38
        .size:           2
        .value_kind:     hidden_group_size_y
      - .offset:         40
        .size:           2
        .value_kind:     hidden_group_size_z
      - .offset:         42
        .size:           2
        .value_kind:     hidden_remainder_x
      - .offset:         44
        .size:           2
        .value_kind:     hidden_remainder_y
      - .offset:         46
        .size:           2
        .value_kind:     hidden_remainder_z
      - .offset:         64
        .size:           8
        .value_kind:     hidden_global_offset_x
      - .offset:         72
        .size:           8
        .value_kind:     hidden_global_offset_y
      - .offset:         80
        .size:           8
        .value_kind:     hidden_global_offset_z
      - .offset:         88
        .size:           2
        .value_kind:     hidden_grid_dims
    .group_segment_fixed_size: 0
    .kernarg_segment_align: 8
    .kernarg_segment_size: 280
    .language:       OpenCL C
    .language_version:
      - 2
      - 0
    .max_flat_workgroup_size: 1024
    .name:           _Z19apply_step_functionPfS_i
    .private_segment_fixed_size: 0
    .sgpr_count:     12
    .sgpr_spill_count: 0
    .symbol:         _Z19apply_step_functionPfS_i.kd
    .uniform_work_group_size: 1
    .uses_dynamic_stack: false
    .vgpr_count:     13
    .vgpr_spill_count: 0
    .wavefront_size: 64
  - .args:
      - .address_space:  global
        .offset:         0
        .size:           8
        .value_kind:     global_buffer
      - .address_space:  global
        .offset:         8
        .size:           8
        .value_kind:     global_buffer
      - .offset:         16
        .size:           4
        .value_kind:     by_value
      - .offset:         20
        .size:           4
        .value_kind:     by_value
      - .offset:         24
        .size:           4
        .value_kind:     hidden_block_count_x
      - .offset:         28
        .size:           4
        .value_kind:     hidden_block_count_y
      - .offset:         32
        .size:           4
        .value_kind:     hidden_block_count_z
      - .offset:         36
        .size:           2
        .value_kind:     hidden_group_size_x
      - .offset:         38
        .size:           2
        .value_kind:     hidden_group_size_y
      - .offset:         40
        .size:           2
        .value_kind:     hidden_group_size_z
      - .offset:         42
        .size:           2
        .value_kind:     hidden_remainder_x
      - .offset:         44
        .size:           2
        .value_kind:     hidden_remainder_y
      - .offset:         46
        .size:           2
        .value_kind:     hidden_remainder_z
      - .offset:         64
        .size:           8
        .value_kind:     hidden_global_offset_x
      - .offset:         72
        .size:           8
        .value_kind:     hidden_global_offset_y
      - .offset:         80
        .size:           8
        .value_kind:     hidden_global_offset_z
      - .offset:         88
        .size:           2
        .value_kind:     hidden_grid_dims
    .group_segment_fixed_size: 0
    .kernarg_segment_align: 8
    .kernarg_segment_size: 280
    .language:       OpenCL C
    .language_version:
      - 2
      - 0
    .max_flat_workgroup_size: 1024
    .name:           _Z9makeErrorPfS_ji
    .private_segment_fixed_size: 0
    .sgpr_count:     12
    .sgpr_spill_count: 0
    .symbol:         _Z9makeErrorPfS_ji.kd
    .uniform_work_group_size: 1
    .uses_dynamic_stack: false
    .vgpr_count:     9
    .vgpr_spill_count: 0
    .wavefront_size: 64
  - .args:
      - .address_space:  global
        .offset:         0
        .size:           8
        .value_kind:     global_buffer
      - .address_space:  global
        .offset:         8
        .size:           8
        .value_kind:     global_buffer
      - .offset:         16
        .size:           4
        .value_kind:     by_value
      - .offset:         24
        .size:           4
        .value_kind:     hidden_block_count_x
      - .offset:         28
        .size:           4
        .value_kind:     hidden_block_count_y
      - .offset:         32
        .size:           4
        .value_kind:     hidden_block_count_z
      - .offset:         36
        .size:           2
        .value_kind:     hidden_group_size_x
      - .offset:         38
        .size:           2
        .value_kind:     hidden_group_size_y
      - .offset:         40
        .size:           2
        .value_kind:     hidden_group_size_z
      - .offset:         42
        .size:           2
        .value_kind:     hidden_remainder_x
      - .offset:         44
        .size:           2
        .value_kind:     hidden_remainder_y
      - .offset:         46
        .size:           2
        .value_kind:     hidden_remainder_z
      - .offset:         64
        .size:           8
        .value_kind:     hidden_global_offset_x
      - .offset:         72
        .size:           8
        .value_kind:     hidden_global_offset_y
      - .offset:         80
        .size:           8
        .value_kind:     hidden_global_offset_z
      - .offset:         88
        .size:           2
        .value_kind:     hidden_grid_dims
    .group_segment_fixed_size: 0
    .kernarg_segment_align: 8
    .kernarg_segment_size: 280
    .language:       OpenCL C
    .language_version:
      - 2
      - 0
    .max_flat_workgroup_size: 1024
    .name:           _Z10apply_gradPfS_i
    .private_segment_fixed_size: 0
    .sgpr_count:     11
    .sgpr_spill_count: 0
    .symbol:         _Z10apply_gradPfS_i.kd
    .uniform_work_group_size: 1
    .uses_dynamic_stack: false
    .vgpr_count:     9
    .vgpr_spill_count: 0
    .wavefront_size: 64
  - .args:
      - .address_space:  global
        .offset:         0
        .size:           8
        .value_kind:     global_buffer
      - .address_space:  global
        .offset:         8
        .size:           8
        .value_kind:     global_buffer
      - .address_space:  global
        .offset:         16
        .size:           8
        .value_kind:     global_buffer
      - .offset:         24
        .size:           4
        .value_kind:     hidden_block_count_x
      - .offset:         28
        .size:           4
        .value_kind:     hidden_block_count_y
      - .offset:         32
        .size:           4
        .value_kind:     hidden_block_count_z
      - .offset:         36
        .size:           2
        .value_kind:     hidden_group_size_x
      - .offset:         38
        .size:           2
        .value_kind:     hidden_group_size_y
      - .offset:         40
        .size:           2
        .value_kind:     hidden_group_size_z
      - .offset:         42
        .size:           2
        .value_kind:     hidden_remainder_x
      - .offset:         44
        .size:           2
        .value_kind:     hidden_remainder_y
      - .offset:         46
        .size:           2
        .value_kind:     hidden_remainder_z
      - .offset:         64
        .size:           8
        .value_kind:     hidden_global_offset_x
      - .offset:         72
        .size:           8
        .value_kind:     hidden_global_offset_y
      - .offset:         80
        .size:           8
        .value_kind:     hidden_global_offset_z
      - .offset:         88
        .size:           2
        .value_kind:     hidden_grid_dims
    .group_segment_fixed_size: 0
    .kernarg_segment_align: 8
    .kernarg_segment_size: 280
    .language:       OpenCL C
    .language_version:
      - 2
      - 0
    .max_flat_workgroup_size: 1024
    .name:           _Z12fp_preact_c1PA28_fPA24_A24_fPA5_A5_f
    .private_segment_fixed_size: 0
    .sgpr_count:     24
    .sgpr_spill_count: 0
    .symbol:         _Z12fp_preact_c1PA28_fPA24_A24_fPA5_A5_f.kd
    .uniform_work_group_size: 1
    .uses_dynamic_stack: false
    .vgpr_count:     20
    .vgpr_spill_count: 0
    .wavefront_size: 64
  - .args:
      - .address_space:  global
        .offset:         0
        .size:           8
        .value_kind:     global_buffer
      - .address_space:  global
        .offset:         8
        .size:           8
        .value_kind:     global_buffer
      - .offset:         16
        .size:           4
        .value_kind:     hidden_block_count_x
      - .offset:         20
        .size:           4
        .value_kind:     hidden_block_count_y
      - .offset:         24
        .size:           4
        .value_kind:     hidden_block_count_z
      - .offset:         28
        .size:           2
        .value_kind:     hidden_group_size_x
      - .offset:         30
        .size:           2
        .value_kind:     hidden_group_size_y
      - .offset:         32
        .size:           2
        .value_kind:     hidden_group_size_z
      - .offset:         34
        .size:           2
        .value_kind:     hidden_remainder_x
      - .offset:         36
        .size:           2
        .value_kind:     hidden_remainder_y
      - .offset:         38
        .size:           2
        .value_kind:     hidden_remainder_z
      - .offset:         56
        .size:           8
        .value_kind:     hidden_global_offset_x
      - .offset:         64
        .size:           8
        .value_kind:     hidden_global_offset_y
      - .offset:         72
        .size:           8
        .value_kind:     hidden_global_offset_z
      - .offset:         80
        .size:           2
        .value_kind:     hidden_grid_dims
    .group_segment_fixed_size: 0
    .kernarg_segment_align: 8
    .kernarg_segment_size: 272
    .language:       OpenCL C
    .language_version:
      - 2
      - 0
    .max_flat_workgroup_size: 1024
    .name:           _Z10fp_bias_c1PA24_A24_fPf
    .private_segment_fixed_size: 0
    .sgpr_count:     16
    .sgpr_spill_count: 0
    .symbol:         _Z10fp_bias_c1PA24_A24_fPf.kd
    .uniform_work_group_size: 1
    .uses_dynamic_stack: false
    .vgpr_count:     15
    .vgpr_spill_count: 0
    .wavefront_size: 64
  - .args:
      - .address_space:  global
        .offset:         0
        .size:           8
        .value_kind:     global_buffer
      - .address_space:  global
        .offset:         8
        .size:           8
        .value_kind:     global_buffer
      - .address_space:  global
        .offset:         16
        .size:           8
        .value_kind:     global_buffer
      - .offset:         24
        .size:           4
        .value_kind:     hidden_block_count_x
      - .offset:         28
        .size:           4
        .value_kind:     hidden_block_count_y
      - .offset:         32
        .size:           4
        .value_kind:     hidden_block_count_z
      - .offset:         36
        .size:           2
        .value_kind:     hidden_group_size_x
      - .offset:         38
        .size:           2
        .value_kind:     hidden_group_size_y
      - .offset:         40
        .size:           2
        .value_kind:     hidden_group_size_z
      - .offset:         42
        .size:           2
        .value_kind:     hidden_remainder_x
      - .offset:         44
        .size:           2
        .value_kind:     hidden_remainder_y
      - .offset:         46
        .size:           2
        .value_kind:     hidden_remainder_z
      - .offset:         64
        .size:           8
        .value_kind:     hidden_global_offset_x
      - .offset:         72
        .size:           8
        .value_kind:     hidden_global_offset_y
      - .offset:         80
        .size:           8
        .value_kind:     hidden_global_offset_z
      - .offset:         88
        .size:           2
        .value_kind:     hidden_grid_dims
    .group_segment_fixed_size: 0
    .kernarg_segment_align: 8
    .kernarg_segment_size: 280
    .language:       OpenCL C
    .language_version:
      - 2
      - 0
    .max_flat_workgroup_size: 1024
    .name:           _Z12fp_preact_s1PA24_A24_fPA6_A6_fPA4_A4_f
    .private_segment_fixed_size: 0
    .sgpr_count:     20
    .sgpr_spill_count: 0
    .symbol:         _Z12fp_preact_s1PA24_A24_fPA6_A6_fPA4_A4_f.kd
    .uniform_work_group_size: 1
    .uses_dynamic_stack: false
    .vgpr_count:     20
    .vgpr_spill_count: 0
    .wavefront_size: 64
  - .args:
      - .address_space:  global
        .offset:         0
        .size:           8
        .value_kind:     global_buffer
      - .address_space:  global
        .offset:         8
        .size:           8
        .value_kind:     global_buffer
      - .offset:         16
        .size:           4
        .value_kind:     hidden_block_count_x
      - .offset:         20
        .size:           4
        .value_kind:     hidden_block_count_y
      - .offset:         24
        .size:           4
        .value_kind:     hidden_block_count_z
      - .offset:         28
        .size:           2
        .value_kind:     hidden_group_size_x
      - .offset:         30
        .size:           2
        .value_kind:     hidden_group_size_y
      - .offset:         32
        .size:           2
        .value_kind:     hidden_group_size_z
      - .offset:         34
        .size:           2
        .value_kind:     hidden_remainder_x
      - .offset:         36
        .size:           2
        .value_kind:     hidden_remainder_y
      - .offset:         38
        .size:           2
        .value_kind:     hidden_remainder_z
      - .offset:         56
        .size:           8
        .value_kind:     hidden_global_offset_x
      - .offset:         64
        .size:           8
        .value_kind:     hidden_global_offset_y
      - .offset:         72
        .size:           8
        .value_kind:     hidden_global_offset_z
      - .offset:         80
        .size:           2
        .value_kind:     hidden_grid_dims
    .group_segment_fixed_size: 0
    .kernarg_segment_align: 8
    .kernarg_segment_size: 272
    .language:       OpenCL C
    .language_version:
      - 2
      - 0
    .max_flat_workgroup_size: 1024
    .name:           _Z10fp_bias_s1PA6_A6_fPf
    .private_segment_fixed_size: 0
    .sgpr_count:     13
    .sgpr_spill_count: 0
    .symbol:         _Z10fp_bias_s1PA6_A6_fPf.kd
    .uniform_work_group_size: 1
    .uses_dynamic_stack: false
    .vgpr_count:     14
    .vgpr_spill_count: 0
    .wavefront_size: 64
  - .args:
      - .address_space:  global
        .offset:         0
        .size:           8
        .value_kind:     global_buffer
      - .address_space:  global
        .offset:         8
        .size:           8
        .value_kind:     global_buffer
      - .address_space:  global
        .offset:         16
        .size:           8
        .value_kind:     global_buffer
      - .offset:         24
        .size:           4
        .value_kind:     hidden_block_count_x
      - .offset:         28
        .size:           4
        .value_kind:     hidden_block_count_y
      - .offset:         32
        .size:           4
        .value_kind:     hidden_block_count_z
      - .offset:         36
        .size:           2
        .value_kind:     hidden_group_size_x
      - .offset:         38
        .size:           2
        .value_kind:     hidden_group_size_y
      - .offset:         40
        .size:           2
        .value_kind:     hidden_group_size_z
      - .offset:         42
        .size:           2
        .value_kind:     hidden_remainder_x
      - .offset:         44
        .size:           2
        .value_kind:     hidden_remainder_y
      - .offset:         46
        .size:           2
        .value_kind:     hidden_remainder_z
      - .offset:         64
        .size:           8
        .value_kind:     hidden_global_offset_x
      - .offset:         72
        .size:           8
        .value_kind:     hidden_global_offset_y
      - .offset:         80
        .size:           8
        .value_kind:     hidden_global_offset_z
      - .offset:         88
        .size:           2
        .value_kind:     hidden_grid_dims
    .group_segment_fixed_size: 0
    .kernarg_segment_align: 8
    .kernarg_segment_size: 280
    .language:       OpenCL C
    .language_version:
      - 2
      - 0
    .max_flat_workgroup_size: 1024
    .name:           _Z11fp_preact_fPA6_A6_fPfPA6_S0_
    .private_segment_fixed_size: 0
    .sgpr_count:     16
    .sgpr_spill_count: 0
    .symbol:         _Z11fp_preact_fPA6_A6_fPfPA6_S0_.kd
    .uniform_work_group_size: 1
    .uses_dynamic_stack: false
    .vgpr_count:     16
    .vgpr_spill_count: 0
    .wavefront_size: 64
  - .args:
      - .address_space:  global
        .offset:         0
        .size:           8
        .value_kind:     global_buffer
      - .address_space:  global
        .offset:         8
        .size:           8
        .value_kind:     global_buffer
      - .offset:         16
        .size:           4
        .value_kind:     hidden_block_count_x
      - .offset:         20
        .size:           4
        .value_kind:     hidden_block_count_y
      - .offset:         24
        .size:           4
        .value_kind:     hidden_block_count_z
      - .offset:         28
        .size:           2
        .value_kind:     hidden_group_size_x
      - .offset:         30
        .size:           2
        .value_kind:     hidden_group_size_y
      - .offset:         32
        .size:           2
        .value_kind:     hidden_group_size_z
      - .offset:         34
        .size:           2
        .value_kind:     hidden_remainder_x
      - .offset:         36
        .size:           2
        .value_kind:     hidden_remainder_y
      - .offset:         38
        .size:           2
        .value_kind:     hidden_remainder_z
      - .offset:         56
        .size:           8
        .value_kind:     hidden_global_offset_x
      - .offset:         64
        .size:           8
        .value_kind:     hidden_global_offset_y
      - .offset:         72
        .size:           8
        .value_kind:     hidden_global_offset_z
      - .offset:         80
        .size:           2
        .value_kind:     hidden_grid_dims
    .group_segment_fixed_size: 0
    .kernarg_segment_align: 8
    .kernarg_segment_size: 272
    .language:       OpenCL C
    .language_version:
      - 2
      - 0
    .max_flat_workgroup_size: 1024
    .name:           _Z9fp_bias_fPfS_
    .private_segment_fixed_size: 0
    .sgpr_count:     11
    .sgpr_spill_count: 0
    .symbol:         _Z9fp_bias_fPfS_.kd
    .uniform_work_group_size: 1
    .uses_dynamic_stack: false
    .vgpr_count:     9
    .vgpr_spill_count: 0
    .wavefront_size: 64
  - .args:
      - .address_space:  global
        .offset:         0
        .size:           8
        .value_kind:     global_buffer
      - .address_space:  global
        .offset:         8
        .size:           8
        .value_kind:     global_buffer
      - .address_space:  global
        .offset:         16
        .size:           8
        .value_kind:     global_buffer
      - .offset:         24
        .size:           4
        .value_kind:     hidden_block_count_x
      - .offset:         28
        .size:           4
        .value_kind:     hidden_block_count_y
      - .offset:         32
        .size:           4
        .value_kind:     hidden_block_count_z
      - .offset:         36
        .size:           2
        .value_kind:     hidden_group_size_x
      - .offset:         38
        .size:           2
        .value_kind:     hidden_group_size_y
      - .offset:         40
        .size:           2
        .value_kind:     hidden_group_size_z
      - .offset:         42
        .size:           2
        .value_kind:     hidden_remainder_x
      - .offset:         44
        .size:           2
        .value_kind:     hidden_remainder_y
      - .offset:         46
        .size:           2
        .value_kind:     hidden_remainder_z
      - .offset:         64
        .size:           8
        .value_kind:     hidden_global_offset_x
      - .offset:         72
        .size:           8
        .value_kind:     hidden_global_offset_y
      - .offset:         80
        .size:           8
        .value_kind:     hidden_global_offset_z
      - .offset:         88
        .size:           2
        .value_kind:     hidden_grid_dims
    .group_segment_fixed_size: 0
    .kernarg_segment_align: 8
    .kernarg_segment_size: 280
    .language:       OpenCL C
    .language_version:
      - 2
      - 0
    .max_flat_workgroup_size: 1024
    .name:           _Z11bp_weight_fPA6_A6_A6_fPfPS0_
    .private_segment_fixed_size: 0
    .sgpr_count:     16
    .sgpr_spill_count: 0
    .symbol:         _Z11bp_weight_fPA6_A6_A6_fPfPS0_.kd
    .uniform_work_group_size: 1
    .uses_dynamic_stack: false
    .vgpr_count:     18
    .vgpr_spill_count: 0
    .wavefront_size: 64
  - .args:
      - .address_space:  global
        .offset:         0
        .size:           8
        .value_kind:     global_buffer
      - .address_space:  global
        .offset:         8
        .size:           8
        .value_kind:     global_buffer
      - .offset:         16
        .size:           4
        .value_kind:     hidden_block_count_x
      - .offset:         20
        .size:           4
        .value_kind:     hidden_block_count_y
      - .offset:         24
        .size:           4
        .value_kind:     hidden_block_count_z
      - .offset:         28
        .size:           2
        .value_kind:     hidden_group_size_x
      - .offset:         30
        .size:           2
        .value_kind:     hidden_group_size_y
      - .offset:         32
        .size:           2
        .value_kind:     hidden_group_size_z
      - .offset:         34
        .size:           2
        .value_kind:     hidden_remainder_x
      - .offset:         36
        .size:           2
        .value_kind:     hidden_remainder_y
      - .offset:         38
        .size:           2
        .value_kind:     hidden_remainder_z
      - .offset:         56
        .size:           8
        .value_kind:     hidden_global_offset_x
      - .offset:         64
        .size:           8
        .value_kind:     hidden_global_offset_y
      - .offset:         72
        .size:           8
        .value_kind:     hidden_global_offset_z
      - .offset:         80
        .size:           2
        .value_kind:     hidden_grid_dims
    .group_segment_fixed_size: 0
    .kernarg_segment_align: 8
    .kernarg_segment_size: 272
    .language:       OpenCL C
    .language_version:
      - 2
      - 0
    .max_flat_workgroup_size: 1024
    .name:           _Z9bp_bias_fPfS_
    .private_segment_fixed_size: 0
    .sgpr_count:     11
    .sgpr_spill_count: 0
    .symbol:         _Z9bp_bias_fPfS_.kd
    .uniform_work_group_size: 1
    .uses_dynamic_stack: false
    .vgpr_count:     9
    .vgpr_spill_count: 0
    .wavefront_size: 64
  - .args:
      - .address_space:  global
        .offset:         0
        .size:           8
        .value_kind:     global_buffer
      - .address_space:  global
        .offset:         8
        .size:           8
        .value_kind:     global_buffer
      - .address_space:  global
        .offset:         16
        .size:           8
        .value_kind:     global_buffer
      - .offset:         24
        .size:           4
        .value_kind:     hidden_block_count_x
      - .offset:         28
        .size:           4
        .value_kind:     hidden_block_count_y
      - .offset:         32
        .size:           4
        .value_kind:     hidden_block_count_z
      - .offset:         36
        .size:           2
        .value_kind:     hidden_group_size_x
      - .offset:         38
        .size:           2
        .value_kind:     hidden_group_size_y
      - .offset:         40
        .size:           2
        .value_kind:     hidden_group_size_z
      - .offset:         42
        .size:           2
        .value_kind:     hidden_remainder_x
      - .offset:         44
        .size:           2
        .value_kind:     hidden_remainder_y
      - .offset:         46
        .size:           2
        .value_kind:     hidden_remainder_z
      - .offset:         64
        .size:           8
        .value_kind:     hidden_global_offset_x
      - .offset:         72
        .size:           8
        .value_kind:     hidden_global_offset_y
      - .offset:         80
        .size:           8
        .value_kind:     hidden_global_offset_z
      - .offset:         88
        .size:           2
        .value_kind:     hidden_grid_dims
    .group_segment_fixed_size: 0
    .kernarg_segment_align: 8
    .kernarg_segment_size: 280
    .language:       OpenCL C
    .language_version:
      - 2
      - 0
    .max_flat_workgroup_size: 1024
    .name:           _Z12bp_output_s1PA6_A6_fPA6_S0_Pf
    .private_segment_fixed_size: 0
    .sgpr_count:     20
    .sgpr_spill_count: 0
    .symbol:         _Z12bp_output_s1PA6_A6_fPA6_S0_Pf.kd
    .uniform_work_group_size: 1
    .uses_dynamic_stack: false
    .vgpr_count:     16
    .vgpr_spill_count: 0
    .wavefront_size: 64
  - .args:
      - .address_space:  global
        .offset:         0
        .size:           8
        .value_kind:     global_buffer
      - .address_space:  global
        .offset:         8
        .size:           8
        .value_kind:     global_buffer
      - .address_space:  global
        .offset:         16
        .size:           8
        .value_kind:     global_buffer
      - .offset:         24
        .size:           4
        .value_kind:     hidden_block_count_x
      - .offset:         28
        .size:           4
        .value_kind:     hidden_block_count_y
      - .offset:         32
        .size:           4
        .value_kind:     hidden_block_count_z
      - .offset:         36
        .size:           2
        .value_kind:     hidden_group_size_x
      - .offset:         38
        .size:           2
        .value_kind:     hidden_group_size_y
      - .offset:         40
        .size:           2
        .value_kind:     hidden_group_size_z
      - .offset:         42
        .size:           2
        .value_kind:     hidden_remainder_x
      - .offset:         44
        .size:           2
        .value_kind:     hidden_remainder_y
      - .offset:         46
        .size:           2
        .value_kind:     hidden_remainder_z
      - .offset:         64
        .size:           8
        .value_kind:     hidden_global_offset_x
      - .offset:         72
        .size:           8
        .value_kind:     hidden_global_offset_y
      - .offset:         80
        .size:           8
        .value_kind:     hidden_global_offset_z
      - .offset:         88
        .size:           2
        .value_kind:     hidden_grid_dims
    .group_segment_fixed_size: 0
    .kernarg_segment_align: 8
    .kernarg_segment_size: 280
    .language:       OpenCL C
    .language_version:
      - 2
      - 0
    .max_flat_workgroup_size: 1024
    .name:           _Z12bp_preact_s1PA6_A6_fS1_S1_
    .private_segment_fixed_size: 0
    .sgpr_count:     20
    .sgpr_spill_count: 0
    .symbol:         _Z12bp_preact_s1PA6_A6_fS1_S1_.kd
    .uniform_work_group_size: 1
    .uses_dynamic_stack: false
    .vgpr_count:     19
    .vgpr_spill_count: 0
    .wavefront_size: 64
  - .args:
      - .address_space:  global
        .offset:         0
        .size:           8
        .value_kind:     global_buffer
      - .address_space:  global
        .offset:         8
        .size:           8
        .value_kind:     global_buffer
      - .address_space:  global
        .offset:         16
        .size:           8
        .value_kind:     global_buffer
      - .offset:         24
        .size:           4
        .value_kind:     hidden_block_count_x
      - .offset:         28
        .size:           4
        .value_kind:     hidden_block_count_y
      - .offset:         32
        .size:           4
        .value_kind:     hidden_block_count_z
      - .offset:         36
        .size:           2
        .value_kind:     hidden_group_size_x
      - .offset:         38
        .size:           2
        .value_kind:     hidden_group_size_y
      - .offset:         40
        .size:           2
        .value_kind:     hidden_group_size_z
      - .offset:         42
        .size:           2
        .value_kind:     hidden_remainder_x
      - .offset:         44
        .size:           2
        .value_kind:     hidden_remainder_y
      - .offset:         46
        .size:           2
        .value_kind:     hidden_remainder_z
      - .offset:         64
        .size:           8
        .value_kind:     hidden_global_offset_x
      - .offset:         72
        .size:           8
        .value_kind:     hidden_global_offset_y
      - .offset:         80
        .size:           8
        .value_kind:     hidden_global_offset_z
      - .offset:         88
        .size:           2
        .value_kind:     hidden_grid_dims
    .group_segment_fixed_size: 0
    .kernarg_segment_align: 8
    .kernarg_segment_size: 280
    .language:       OpenCL C
    .language_version:
      - 2
      - 0
    .max_flat_workgroup_size: 1024
    .name:           _Z12bp_weight_s1PA4_A4_fPA6_A6_fPA24_A24_f
    .private_segment_fixed_size: 0
    .sgpr_count:     16
    .sgpr_spill_count: 0
    .symbol:         _Z12bp_weight_s1PA4_A4_fPA6_A6_fPA24_A24_f.kd
    .uniform_work_group_size: 1
    .uses_dynamic_stack: false
    .vgpr_count:     21
    .vgpr_spill_count: 0
    .wavefront_size: 64
  - .args:
      - .address_space:  global
        .offset:         0
        .size:           8
        .value_kind:     global_buffer
      - .address_space:  global
        .offset:         8
        .size:           8
        .value_kind:     global_buffer
      - .offset:         16
        .size:           4
        .value_kind:     hidden_block_count_x
      - .offset:         20
        .size:           4
        .value_kind:     hidden_block_count_y
      - .offset:         24
        .size:           4
        .value_kind:     hidden_block_count_z
      - .offset:         28
        .size:           2
        .value_kind:     hidden_group_size_x
      - .offset:         30
        .size:           2
        .value_kind:     hidden_group_size_y
      - .offset:         32
        .size:           2
        .value_kind:     hidden_group_size_z
      - .offset:         34
        .size:           2
        .value_kind:     hidden_remainder_x
      - .offset:         36
        .size:           2
        .value_kind:     hidden_remainder_y
      - .offset:         38
        .size:           2
        .value_kind:     hidden_remainder_z
      - .offset:         56
        .size:           8
        .value_kind:     hidden_global_offset_x
      - .offset:         64
        .size:           8
        .value_kind:     hidden_global_offset_y
      - .offset:         72
        .size:           8
        .value_kind:     hidden_global_offset_z
      - .offset:         80
        .size:           2
        .value_kind:     hidden_grid_dims
    .group_segment_fixed_size: 0
    .kernarg_segment_align: 8
    .kernarg_segment_size: 272
    .language:       OpenCL C
    .language_version:
      - 2
      - 0
    .max_flat_workgroup_size: 1024
    .name:           _Z10bp_bias_s1PfPA6_A6_f
    .private_segment_fixed_size: 0
    .sgpr_count:     17
    .sgpr_spill_count: 0
    .symbol:         _Z10bp_bias_s1PfPA6_A6_f.kd
    .uniform_work_group_size: 1
    .uses_dynamic_stack: false
    .vgpr_count:     11
    .vgpr_spill_count: 0
    .wavefront_size: 64
  - .args:
      - .address_space:  global
        .offset:         0
        .size:           8
        .value_kind:     global_buffer
      - .address_space:  global
        .offset:         8
        .size:           8
        .value_kind:     global_buffer
      - .address_space:  global
        .offset:         16
        .size:           8
        .value_kind:     global_buffer
      - .offset:         24
        .size:           4
        .value_kind:     hidden_block_count_x
      - .offset:         28
        .size:           4
        .value_kind:     hidden_block_count_y
      - .offset:         32
        .size:           4
        .value_kind:     hidden_block_count_z
      - .offset:         36
        .size:           2
        .value_kind:     hidden_group_size_x
      - .offset:         38
        .size:           2
        .value_kind:     hidden_group_size_y
      - .offset:         40
        .size:           2
        .value_kind:     hidden_group_size_z
      - .offset:         42
        .size:           2
        .value_kind:     hidden_remainder_x
      - .offset:         44
        .size:           2
        .value_kind:     hidden_remainder_y
      - .offset:         46
        .size:           2
        .value_kind:     hidden_remainder_z
      - .offset:         64
        .size:           8
        .value_kind:     hidden_global_offset_x
      - .offset:         72
        .size:           8
        .value_kind:     hidden_global_offset_y
      - .offset:         80
        .size:           8
        .value_kind:     hidden_global_offset_z
      - .offset:         88
        .size:           2
        .value_kind:     hidden_grid_dims
    .group_segment_fixed_size: 0
    .kernarg_segment_align: 8
    .kernarg_segment_size: 280
    .language:       OpenCL C
    .language_version:
      - 2
      - 0
    .max_flat_workgroup_size: 1024
    .name:           _Z12bp_output_c1PA24_A24_fPA4_A4_fPA6_A6_f
    .private_segment_fixed_size: 0
    .sgpr_count:     16
    .sgpr_spill_count: 0
    .symbol:         _Z12bp_output_c1PA24_A24_fPA4_A4_fPA6_A6_f.kd
    .uniform_work_group_size: 1
    .uses_dynamic_stack: false
    .vgpr_count:     20
    .vgpr_spill_count: 0
    .wavefront_size: 64
  - .args:
      - .address_space:  global
        .offset:         0
        .size:           8
        .value_kind:     global_buffer
      - .address_space:  global
        .offset:         8
        .size:           8
        .value_kind:     global_buffer
      - .address_space:  global
        .offset:         16
        .size:           8
        .value_kind:     global_buffer
      - .offset:         24
        .size:           4
        .value_kind:     hidden_block_count_x
      - .offset:         28
        .size:           4
        .value_kind:     hidden_block_count_y
      - .offset:         32
        .size:           4
        .value_kind:     hidden_block_count_z
      - .offset:         36
        .size:           2
        .value_kind:     hidden_group_size_x
      - .offset:         38
        .size:           2
        .value_kind:     hidden_group_size_y
      - .offset:         40
        .size:           2
        .value_kind:     hidden_group_size_z
      - .offset:         42
        .size:           2
        .value_kind:     hidden_remainder_x
      - .offset:         44
        .size:           2
        .value_kind:     hidden_remainder_y
      - .offset:         46
        .size:           2
        .value_kind:     hidden_remainder_z
      - .offset:         64
        .size:           8
        .value_kind:     hidden_global_offset_x
      - .offset:         72
        .size:           8
        .value_kind:     hidden_global_offset_y
      - .offset:         80
        .size:           8
        .value_kind:     hidden_global_offset_z
      - .offset:         88
        .size:           2
        .value_kind:     hidden_grid_dims
    .group_segment_fixed_size: 0
    .kernarg_segment_align: 8
    .kernarg_segment_size: 280
    .language:       OpenCL C
    .language_version:
      - 2
      - 0
    .max_flat_workgroup_size: 1024
    .name:           _Z12bp_preact_c1PA24_A24_fS1_S1_
    .private_segment_fixed_size: 0
    .sgpr_count:     20
    .sgpr_spill_count: 0
    .symbol:         _Z12bp_preact_c1PA24_A24_fS1_S1_.kd
    .uniform_work_group_size: 1
    .uses_dynamic_stack: false
    .vgpr_count:     19
    .vgpr_spill_count: 0
    .wavefront_size: 64
  - .args:
      - .address_space:  global
        .offset:         0
        .size:           8
        .value_kind:     global_buffer
      - .address_space:  global
        .offset:         8
        .size:           8
        .value_kind:     global_buffer
      - .address_space:  global
        .offset:         16
        .size:           8
        .value_kind:     global_buffer
      - .offset:         24
        .size:           4
        .value_kind:     hidden_block_count_x
      - .offset:         28
        .size:           4
        .value_kind:     hidden_block_count_y
      - .offset:         32
        .size:           4
        .value_kind:     hidden_block_count_z
      - .offset:         36
        .size:           2
        .value_kind:     hidden_group_size_x
      - .offset:         38
        .size:           2
        .value_kind:     hidden_group_size_y
      - .offset:         40
        .size:           2
        .value_kind:     hidden_group_size_z
      - .offset:         42
        .size:           2
        .value_kind:     hidden_remainder_x
      - .offset:         44
        .size:           2
        .value_kind:     hidden_remainder_y
      - .offset:         46
        .size:           2
        .value_kind:     hidden_remainder_z
      - .offset:         64
        .size:           8
        .value_kind:     hidden_global_offset_x
      - .offset:         72
        .size:           8
        .value_kind:     hidden_global_offset_y
      - .offset:         80
        .size:           8
        .value_kind:     hidden_global_offset_z
      - .offset:         88
        .size:           2
        .value_kind:     hidden_grid_dims
    .group_segment_fixed_size: 0
    .kernarg_segment_align: 8
    .kernarg_segment_size: 280
    .language:       OpenCL C
    .language_version:
      - 2
      - 0
    .max_flat_workgroup_size: 1024
    .name:           _Z12bp_weight_c1PA5_A5_fPA24_A24_fPA28_f
    .private_segment_fixed_size: 0
    .sgpr_count:     20
    .sgpr_spill_count: 0
    .symbol:         _Z12bp_weight_c1PA5_A5_fPA24_A24_fPA28_f.kd
    .uniform_work_group_size: 1
    .uses_dynamic_stack: false
    .vgpr_count:     17
    .vgpr_spill_count: 0
    .wavefront_size: 64
  - .args:
      - .address_space:  global
        .offset:         0
        .size:           8
        .value_kind:     global_buffer
      - .address_space:  global
        .offset:         8
        .size:           8
        .value_kind:     global_buffer
      - .offset:         16
        .size:           4
        .value_kind:     hidden_block_count_x
      - .offset:         20
        .size:           4
        .value_kind:     hidden_block_count_y
      - .offset:         24
        .size:           4
        .value_kind:     hidden_block_count_z
      - .offset:         28
        .size:           2
        .value_kind:     hidden_group_size_x
      - .offset:         30
        .size:           2
        .value_kind:     hidden_group_size_y
      - .offset:         32
        .size:           2
        .value_kind:     hidden_group_size_z
      - .offset:         34
        .size:           2
        .value_kind:     hidden_remainder_x
      - .offset:         36
        .size:           2
        .value_kind:     hidden_remainder_y
      - .offset:         38
        .size:           2
        .value_kind:     hidden_remainder_z
      - .offset:         56
        .size:           8
        .value_kind:     hidden_global_offset_x
      - .offset:         64
        .size:           8
        .value_kind:     hidden_global_offset_y
      - .offset:         72
        .size:           8
        .value_kind:     hidden_global_offset_z
      - .offset:         80
        .size:           2
        .value_kind:     hidden_grid_dims
    .group_segment_fixed_size: 0
    .kernarg_segment_align: 8
    .kernarg_segment_size: 272
    .language:       OpenCL C
    .language_version:
      - 2
      - 0
    .max_flat_workgroup_size: 1024
    .name:           _Z10bp_bias_c1PfPA24_A24_f
    .private_segment_fixed_size: 0
    .sgpr_count:     14
    .sgpr_spill_count: 0
    .symbol:         _Z10bp_bias_c1PfPA24_A24_f.kd
    .uniform_work_group_size: 1
    .uses_dynamic_stack: false
    .vgpr_count:     14
    .vgpr_spill_count: 0
    .wavefront_size: 64
amdhsa.target:   amdgcn-amd-amdhsa--gfx906
amdhsa.version:
  - 1
  - 2
...

	.end_amdgpu_metadata
